;; amdgpu-corpus repo=ROCm/rocFFT kind=compiled arch=gfx950 opt=O3
	.text
	.amdgcn_target "amdgcn-amd-amdhsa--gfx950"
	.amdhsa_code_object_version 6
	.protected	bluestein_single_back_len1296_dim1_sp_op_CI_CI ; -- Begin function bluestein_single_back_len1296_dim1_sp_op_CI_CI
	.globl	bluestein_single_back_len1296_dim1_sp_op_CI_CI
	.p2align	8
	.type	bluestein_single_back_len1296_dim1_sp_op_CI_CI,@function
bluestein_single_back_len1296_dim1_sp_op_CI_CI: ; @bluestein_single_back_len1296_dim1_sp_op_CI_CI
; %bb.0:
	s_load_dwordx4 s[16:19], s[0:1], 0x28
	v_mul_u32_u24_e32 v1, 0x25f, v0
	v_add_u32_sdwa v50, s2, v1 dst_sel:DWORD dst_unused:UNUSED_PAD src0_sel:DWORD src1_sel:WORD_1
	v_mov_b32_e32 v51, 0
	s_waitcnt lgkmcnt(0)
	v_cmp_gt_u64_e32 vcc, s[16:17], v[50:51]
	s_and_saveexec_b64 s[2:3], vcc
	s_cbranch_execz .LBB0_2
; %bb.1:
	s_load_dwordx4 s[12:15], s[0:1], 0x18
	s_load_dwordx4 s[8:11], s[0:1], 0x0
	v_mov_b32_e32 v2, s18
	v_mov_b32_e32 v3, s19
	;; [unrolled: 1-line block ×3, first 2 shown]
	s_waitcnt lgkmcnt(0)
	s_load_dwordx4 s[4:7], s[14:15], 0x0
	s_waitcnt lgkmcnt(0)
	v_mad_u64_u32 v[48:49], s[2:3], s6, v50, 0
	s_load_dwordx4 s[12:15], s[12:13], 0x0
	v_mov_b32_e32 v6, v49
	v_mad_u64_u32 v[58:59], s[2:3], s7, v50, v[6:7]
	v_mov_b32_e32 v59, 0x6c0
	s_waitcnt lgkmcnt(0)
	v_mad_u64_u32 v[4:5], s[2:3], s14, v50, 0
	v_mov_b32_e32 v6, v5
	v_mad_u64_u32 v[6:7], s[2:3], s15, v50, v[6:7]
	s_movk_i32 s2, 0x6c
	s_nop 0
	v_mul_lo_u16_sdwa v1, v1, s2 dst_sel:DWORD dst_unused:UNUSED_PAD src0_sel:WORD_1 src1_sel:DWORD
	v_sub_u16_e32 v54, v0, v1
	v_mad_u64_u32 v[0:1], s[2:3], s12, v54, 0
	v_mov_b32_e32 v5, v6
	v_mov_b32_e32 v6, v1
	v_mad_u64_u32 v[6:7], s[2:3], s13, v54, v[6:7]
	v_mov_b32_e32 v1, v6
	v_lshl_add_u64 v[2:3], v[4:5], 3, v[2:3]
	v_lshl_add_u64 v[2:3], v[0:1], 3, v[2:3]
	global_load_dwordx2 v[0:1], v[2:3], off
	v_lshlrev_b32_e32 v50, 3, v54
	v_mad_u64_u32 v[2:3], s[2:3], s12, v59, v[2:3]
	global_load_dwordx2 v[62:63], v50, s[8:9]
	s_mul_i32 s2, s13, 0x6c0
	s_movk_i32 s14, 0x1000
	v_lshl_add_u64 v[80:81], s[8:9], 0, v[50:51]
	v_add_u32_e32 v3, s2, v3
	global_load_dwordx2 v[56:57], v50, s[8:9] offset:1728
	global_load_dwordx2 v[4:5], v[2:3], off
	v_add_co_u32_e32 v6, vcc, s14, v80
	v_mad_u64_u32 v[2:3], s[6:7], s12, v59, v[2:3]
	s_nop 0
	v_addc_co_u32_e32 v7, vcc, 0, v81, vcc
	v_add_u32_e32 v3, s2, v3
	global_load_dwordx2 v[52:53], v50, s[8:9] offset:3456
	s_mul_i32 s6, s13, 0xffffe1a0
	global_load_dwordx2 v[78:79], v[6:7], off offset:1088
	global_load_dwordx2 v[8:9], v[2:3], off
	s_sub_i32 s13, s6, s12
	v_mad_u64_u32 v[2:3], s[6:7], s12, v59, v[2:3]
	v_add_u32_e32 v3, s2, v3
	global_load_dwordx2 v[76:77], v[6:7], off offset:2816
	global_load_dwordx2 v[10:11], v[2:3], off
	v_mad_u64_u32 v[2:3], s[6:7], s12, v59, v[2:3]
	v_add_u32_e32 v3, s2, v3
	s_movk_i32 s3, 0x2000
	global_load_dwordx2 v[12:13], v[2:3], off
	v_mad_u64_u32 v[2:3], s[6:7], s12, v59, v[2:3]
	v_add_co_u32_e32 v86, vcc, s3, v80
	v_add_u32_e32 v3, s2, v3
	s_nop 0
	v_addc_co_u32_e32 v87, vcc, 0, v81, vcc
	global_load_dwordx2 v[14:15], v[2:3], off
	global_load_dwordx2 v[74:75], v[86:87], off offset:448
	global_load_dwordx2 v[68:69], v50, s[8:9] offset:2592
	global_load_dwordx2 v[72:73], v50, s[8:9] offset:864
	v_mad_u64_u32 v[2:3], s[6:7], s12, v89, v[2:3]
	v_add_u32_e32 v3, s13, v3
	global_load_dwordx2 v[16:17], v[2:3], off
	v_mad_u64_u32 v[2:3], s[6:7], s12, v59, v[2:3]
	v_add_u32_e32 v3, s2, v3
	global_load_dwordx2 v[18:19], v[2:3], off
	global_load_dwordx2 v[60:61], v[6:7], off offset:1952
	global_load_dwordx2 v[66:67], v[6:7], off offset:224
	v_mad_u64_u32 v[2:3], s[6:7], s12, v59, v[2:3]
	v_add_u32_e32 v3, s2, v3
	global_load_dwordx2 v[20:21], v[2:3], off
	v_mad_u64_u32 v[2:3], s[6:7], s12, v59, v[2:3]
	v_add_u32_e32 v3, s2, v3
	global_load_dwordx2 v[22:23], v[2:3], off
	;; [unrolled: 3-line block ×3, first 2 shown]
	global_load_dwordx2 v[64:65], v[86:87], off offset:1312
	global_load_dwordx2 v[70:71], v[6:7], off offset:3680
	v_mad_u64_u32 v[2:3], s[6:7], s12, v59, v[2:3]
	v_add_u32_e32 v3, s2, v3
	global_load_dwordx2 v[2:3], v[2:3], off
	v_add_u32_e32 v91, 0xc00, v50
	v_add_u32_e32 v51, 0x1800, v50
	v_add_u32_e32 v101, 0x400, v50
	v_add_u32_e32 v93, 0x2000, v50
	v_add_u32_e32 v95, 0x1000, v50
	s_mov_b32 s8, 0x3f5db3d7
	s_mov_b32 s9, 0xbf5db3d7
	s_mov_b32 s6, 0.5
	s_mov_b32 s7, s8
	s_mov_b32 s2, s8
	;; [unrolled: 1-line block ×4, first 2 shown]
	v_mov_b32_e32 v55, s12
	s_mov_b64 s[12:13], 0x6c
	s_movk_i32 s15, 0xab
	s_load_dwordx2 s[0:1], s[0:1], 0x38
	s_waitcnt vmcnt(22)
	v_mul_f32_e32 v6, v1, v63
	v_mul_f32_e32 v7, v0, v63
	v_fmac_f32_e32 v6, v0, v62
	v_fma_f32 v7, v1, v62, -v7
	s_waitcnt vmcnt(20)
	v_mul_f32_e32 v0, v5, v57
	v_mul_f32_e32 v1, v4, v57
	v_fmac_f32_e32 v0, v4, v56
	v_fma_f32 v1, v5, v56, -v1
	ds_write_b64 v50, v[0:1] offset:1728
	s_waitcnt vmcnt(17)
	v_mul_f32_e32 v0, v9, v53
	v_mul_f32_e32 v1, v8, v53
	v_fmac_f32_e32 v0, v8, v52
	v_fma_f32 v1, v9, v52, -v1
	ds_write_b64 v50, v[0:1] offset:3456
	s_waitcnt vmcnt(15)
	v_mul_f32_e32 v0, v10, v79
	v_fma_f32 v1, v11, v78, -v0
	v_mul_f32_e32 v0, v11, v79
	v_fmac_f32_e32 v0, v10, v78
	ds_write_b64 v50, v[0:1] offset:5184
	s_waitcnt vmcnt(14)
	v_mul_f32_e32 v0, v13, v77
	v_mul_f32_e32 v1, v12, v77
	v_fmac_f32_e32 v0, v12, v76
	v_fma_f32 v1, v13, v76, -v1
	ds_write_b64 v50, v[0:1] offset:6912
	s_waitcnt vmcnt(12)
	v_mul_f32_e32 v0, v15, v75
	v_mul_f32_e32 v1, v14, v75
	v_fmac_f32_e32 v0, v14, v74
	v_fma_f32 v1, v15, v74, -v1
	;; [unrolled: 6-line block ×3, first 2 shown]
	ds_write2_b64 v50, v[6:7], v[0:1] offset1:108
	s_waitcnt vmcnt(8)
	v_mul_f32_e32 v0, v19, v69
	v_mul_f32_e32 v1, v18, v69
	v_fmac_f32_e32 v0, v18, v68
	v_fma_f32 v1, v19, v68, -v1
	ds_write_b64 v50, v[0:1] offset:2592
	s_waitcnt vmcnt(5)
	v_mul_f32_e32 v0, v21, v67
	v_mul_f32_e32 v1, v20, v67
	v_fmac_f32_e32 v0, v20, v66
	v_fma_f32 v1, v21, v66, -v1
	ds_write_b64 v50, v[0:1] offset:4320
	;; [unrolled: 6-line block ×5, first 2 shown]
	s_waitcnt lgkmcnt(0)
	s_barrier
	ds_read2_b64 v[0:3], v50 offset1:108
	ds_read2_b64 v[4:7], v91 offset0:48 offset1:156
	ds_read2_b64 v[8:11], v51 offset0:96 offset1:204
	s_waitcnt lgkmcnt(1)
	v_pk_add_f32 v[20:21], v[2:3], v[6:7]
	v_pk_add_f32 v[22:23], v[0:1], v[4:5]
	s_waitcnt lgkmcnt(0)
	v_pk_add_f32 v[24:25], v[4:5], v[8:9]
	v_pk_add_f32 v[26:27], v[4:5], v[8:9] neg_lo:[0,1] neg_hi:[0,1]
	v_pk_add_f32 v[28:29], v[6:7], v[10:11]
	v_pk_add_f32 v[30:31], v[6:7], v[10:11] neg_lo:[0,1] neg_hi:[0,1]
	ds_read2_b64 v[4:7], v101 offset0:88 offset1:196
	ds_read2_b64 v[12:15], v95 offset0:136 offset1:244
	;; [unrolled: 1-line block ×3, first 2 shown]
	v_pk_add_f32 v[20:21], v[20:21], v[10:11]
	v_pk_add_f32 v[22:23], v[22:23], v[8:9]
	v_pk_fma_f32 v[0:1], v[24:25], 0.5, v[0:1] op_sel_hi:[1,0,1] neg_lo:[1,0,0] neg_hi:[1,0,0]
	s_waitcnt lgkmcnt(1)
	v_pk_add_f32 v[8:9], v[6:7], v[14:15]
	s_waitcnt lgkmcnt(0)
	v_pk_add_f32 v[32:33], v[12:13], v[16:17]
	v_pk_add_f32 v[10:11], v[4:5], v[12:13]
	v_pk_add_f32 v[12:13], v[12:13], v[16:17] neg_lo:[0,1] neg_hi:[0,1]
	v_pk_fma_f32 v[4:5], v[32:33], 0.5, v[4:5] op_sel_hi:[1,0,1] neg_lo:[1,0,0] neg_hi:[1,0,0]
	v_pk_add_f32 v[34:35], v[14:15], v[18:19]
	v_pk_add_f32 v[14:15], v[14:15], v[18:19] neg_lo:[0,1] neg_hi:[0,1]
	v_pk_add_f32 v[18:19], v[8:9], v[18:19]
	v_pk_mul_f32 v[8:9], v[26:27], s[8:9] op_sel_hi:[1,0]
	v_pk_fma_f32 v[26:27], v[12:13], s[8:9], v[4:5] op_sel:[0,0,1] op_sel_hi:[1,0,0]
	v_pk_add_f32 v[24:25], v[0:1], v[8:9] op_sel:[0,1] op_sel_hi:[1,0]
	v_pk_add_f32 v[0:1], v[0:1], v[8:9] op_sel:[0,1] op_sel_hi:[1,0] neg_lo:[0,1] neg_hi:[0,1]
	v_pk_fma_f32 v[4:5], v[12:13], s[8:9], v[4:5] op_sel:[0,0,1] op_sel_hi:[1,0,0] neg_lo:[1,0,0] neg_hi:[1,0,0]
	v_pk_mul_f32 v[8:9], v[26:27], s[6:7] op_sel:[1,0]
	v_pk_add_f32 v[16:17], v[10:11], v[16:17]
	v_pk_fma_f32 v[12:13], v[4:5], s[2:3], v[8:9]
	v_pk_fma_f32 v[8:9], v[4:5], s[2:3], v[8:9] op_sel_hi:[0,1,1] neg_lo:[0,0,1] neg_hi:[0,0,1]
	v_mov_b32_e32 v13, v9
	v_mul_lo_u16_e32 v4, 6, v54
	v_mov_b32_e32 v32, v24
	v_mov_b32_e32 v33, v1
	v_lshlrev_b32_e32 v103, 3, v4
	v_pk_add_f32 v[8:9], v[22:23], v[16:17]
	v_pk_add_f32 v[10:11], v[32:33], v[12:13]
	v_mov_b32_e32 v4, v26
	s_barrier
	ds_write_b128 v103, v[8:11]
	v_pk_mul_f32 v[8:9], v[4:5], 0.5 op_sel_hi:[1,0]
	v_mov_b32_e32 v1, v25
	v_pk_fma_f32 v[4:5], v[4:5], s[8:9], v[8:9] op_sel:[0,0,1] op_sel_hi:[1,1,0] neg_lo:[0,0,1] neg_hi:[0,0,1]
	v_pk_add_f32 v[10:11], v[22:23], v[16:17] neg_lo:[0,1] neg_hi:[0,1]
	v_pk_add_f32 v[8:9], v[0:1], v[4:5]
	ds_write_b128 v103, v[8:11] offset:16
	v_pk_add_f32 v[8:9], v[32:33], v[12:13] neg_lo:[0,1] neg_hi:[0,1]
	v_pk_add_f32 v[10:11], v[0:1], v[4:5] neg_lo:[0,1] neg_hi:[0,1]
	v_pk_fma_f32 v[0:1], v[28:29], 0.5, v[2:3] op_sel_hi:[1,0,1] neg_lo:[1,0,0] neg_hi:[1,0,0]
	v_pk_mul_f32 v[2:3], v[30:31], s[8:9] op_sel_hi:[1,0]
	ds_write_b128 v103, v[8:11] offset:32
	v_pk_add_f32 v[4:5], v[0:1], v[2:3] op_sel:[0,1] op_sel_hi:[1,0]
	v_pk_add_f32 v[8:9], v[0:1], v[2:3] op_sel:[0,1] op_sel_hi:[1,0] neg_lo:[0,1] neg_hi:[0,1]
	v_pk_fma_f32 v[0:1], v[34:35], 0.5, v[6:7] op_sel_hi:[1,0,1] neg_lo:[1,0,0] neg_hi:[1,0,0]
	v_lshl_add_u64 v[16:17], v[54:55], 0, s[12:13]
	v_pk_fma_f32 v[6:7], v[14:15], s[8:9], v[0:1] op_sel:[0,0,1] op_sel_hi:[1,0,0]
	v_pk_fma_f32 v[10:11], v[14:15], s[8:9], v[0:1] op_sel:[0,0,1] op_sel_hi:[1,0,0] neg_lo:[1,0,0] neg_hi:[1,0,0]
	v_pk_mul_f32 v[0:1], v[6:7], s[6:7] op_sel:[1,0]
	v_mov_b32_e32 v14, v4
	v_pk_fma_f32 v[12:13], v[10:11], s[2:3], v[0:1]
	v_pk_fma_f32 v[0:1], v[10:11], s[2:3], v[0:1] op_sel_hi:[0,1,1] neg_lo:[0,0,1] neg_hi:[0,0,1]
	v_mov_b32_e32 v13, v1
	v_mul_u32_u24_e32 v0, 6, v16
	v_mov_b32_e32 v15, v9
	v_lshlrev_b32_e32 v49, 3, v0
	v_pk_add_f32 v[0:1], v[20:21], v[18:19]
	v_pk_add_f32 v[2:3], v[14:15], v[12:13]
	v_mov_b32_e32 v10, v6
	ds_write_b128 v49, v[0:3]
	v_pk_mul_f32 v[0:1], v[10:11], 0.5 op_sel_hi:[1,0]
	v_mov_b32_e32 v9, v5
	v_pk_fma_f32 v[6:7], v[10:11], s[8:9], v[0:1] op_sel:[0,0,1] op_sel_hi:[1,1,0] neg_lo:[0,0,1] neg_hi:[0,0,1]
	v_pk_add_f32 v[2:3], v[20:21], v[18:19] neg_lo:[0,1] neg_hi:[0,1]
	v_pk_add_f32 v[0:1], v[8:9], v[6:7]
	ds_write_b128 v49, v[0:3] offset:16
	v_pk_add_f32 v[0:1], v[14:15], v[12:13] neg_lo:[0,1] neg_hi:[0,1]
	v_pk_add_f32 v[2:3], v[8:9], v[6:7] neg_lo:[0,1] neg_hi:[0,1]
	ds_write_b128 v49, v[0:3] offset:32
	v_mul_lo_u16_sdwa v0, v16, s15 dst_sel:DWORD dst_unused:UNUSED_PAD src0_sel:BYTE_0 src1_sel:DWORD
	v_lshrrev_b16_e32 v17, 10, v0
	v_mul_lo_u16_e32 v0, 6, v17
	v_sub_u16_e32 v0, v16, v0
	v_and_b32_e32 v55, 0xff, v0
	v_mad_u64_u32 v[18:19], s[12:13], v55, 40, s[10:11]
	s_waitcnt lgkmcnt(0)
	s_barrier
	global_load_dwordx4 v[4:7], v[18:19], off
	v_mul_lo_u16_sdwa v0, v54, s15 dst_sel:DWORD dst_unused:UNUSED_PAD src0_sel:BYTE_0 src1_sel:DWORD
	v_lshrrev_b16_e32 v100, 10, v0
	v_mul_lo_u16_e32 v0, 6, v100
	v_sub_u16_e32 v0, v54, v0
	v_and_b32_e32 v102, 0xff, v0
	v_mad_u64_u32 v[20:21], s[12:13], v102, 40, s[10:11]
	global_load_dwordx4 v[0:3], v[20:21], off
	global_load_dwordx4 v[12:15], v[18:19], off offset:16
	global_load_dwordx4 v[8:11], v[20:21], off offset:16
	global_load_dwordx2 v[84:85], v[18:19], off offset:32
	global_load_dwordx2 v[82:83], v[20:21], off offset:32
	ds_read2_b64 v[18:21], v101 offset0:88 offset1:196
	v_mul_u32_u24_e32 v17, 36, v17
	v_add_lshl_u32 v55, v17, v55, 3
	s_waitcnt vmcnt(5) lgkmcnt(0)
	v_pk_mul_f32 v[22:23], v[20:21], v[4:5] op_sel:[0,1]
	s_nop 0
	v_pk_fma_f32 v[26:27], v[20:21], v[4:5], v[22:23] op_sel:[0,0,1] op_sel_hi:[1,1,0] neg_lo:[0,0,1] neg_hi:[0,0,1]
	v_pk_fma_f32 v[28:29], v[20:21], v[4:5], v[22:23] op_sel:[0,0,1] op_sel_hi:[1,0,0]
	ds_read2_b64 v[20:23], v91 offset0:48 offset1:156
	s_waitcnt vmcnt(4)
	v_pk_mul_f32 v[24:25], v[18:19], v[0:1] op_sel:[0,1]
	v_mov_b32_e32 v94, v7
	v_pk_fma_f32 v[30:31], v[18:19], v[0:1], v[24:25] op_sel:[0,0,1] op_sel_hi:[1,1,0] neg_lo:[0,0,1] neg_hi:[0,0,1]
	v_pk_fma_f32 v[32:33], v[18:19], v[0:1], v[24:25] op_sel:[0,0,1] op_sel_hi:[1,0,0]
	s_waitcnt lgkmcnt(0)
	v_pk_mul_f32 v[18:19], v[22:23], v[94:95] op_sel_hi:[1,0]
	v_mov_b32_e32 v90, v3
	v_pk_fma_f32 v[34:35], v[22:23], v[6:7], v[18:19] op_sel:[0,0,1] op_sel_hi:[1,1,0] neg_lo:[0,0,1] neg_hi:[0,0,1]
	v_pk_fma_f32 v[36:37], v[22:23], v[6:7], v[18:19] op_sel:[0,0,1] op_sel_hi:[1,0,0]
	ds_read2_b64 v[22:25], v95 offset0:136 offset1:244
	v_pk_mul_f32 v[18:19], v[20:21], v[90:91] op_sel_hi:[1,0]
	s_waitcnt vmcnt(3)
	v_mov_b32_e32 v92, v15
	v_pk_fma_f32 v[38:39], v[20:21], v[2:3], v[18:19] op_sel:[0,0,1] op_sel_hi:[1,1,0] neg_lo:[0,0,1] neg_hi:[0,0,1]
	v_pk_fma_f32 v[40:41], v[20:21], v[2:3], v[18:19] op_sel:[0,0,1] op_sel_hi:[1,0,0]
	s_waitcnt lgkmcnt(0)
	v_pk_mul_f32 v[18:19], v[24:25], v[12:13] op_sel:[0,1]
	s_waitcnt vmcnt(2)
	v_pk_mul_f32 v[44:45], v[22:23], v[8:9] op_sel:[0,1]
	v_pk_fma_f32 v[42:43], v[24:25], v[12:13], v[18:19] op_sel:[0,0,1] op_sel_hi:[1,1,0] neg_lo:[0,0,1] neg_hi:[0,0,1]
	v_pk_fma_f32 v[24:25], v[24:25], v[12:13], v[18:19] op_sel:[0,0,1] op_sel_hi:[1,0,0]
	ds_read2_b64 v[18:21], v51 offset0:96 offset1:204
	v_pk_fma_f32 v[46:47], v[22:23], v[8:9], v[44:45] op_sel:[0,0,1] op_sel_hi:[1,1,0] neg_lo:[0,0,1] neg_hi:[0,0,1]
	v_pk_fma_f32 v[44:45], v[22:23], v[8:9], v[44:45] op_sel:[0,0,1] op_sel_hi:[1,0,0]
	v_mov_b32_e32 v88, v11
	v_mov_b32_e32 v39, v41
	s_waitcnt lgkmcnt(0)
	v_pk_mul_f32 v[22:23], v[20:21], v[92:93] op_sel_hi:[1,0]
	v_pk_mul_f32 v[104:105], v[18:19], v[88:89] op_sel_hi:[1,0]
	v_pk_fma_f32 v[96:97], v[20:21], v[14:15], v[22:23] op_sel:[0,0,1] op_sel_hi:[1,1,0] neg_lo:[0,0,1] neg_hi:[0,0,1]
	v_pk_fma_f32 v[98:99], v[20:21], v[14:15], v[22:23] op_sel:[0,0,1] op_sel_hi:[1,0,0]
	ds_read2_b64 v[20:23], v93 offset0:56 offset1:164
	v_pk_fma_f32 v[106:107], v[18:19], v[10:11], v[104:105] op_sel:[0,0,1] op_sel_hi:[1,1,0] neg_lo:[0,0,1] neg_hi:[0,0,1]
	v_pk_fma_f32 v[104:105], v[18:19], v[10:11], v[104:105] op_sel:[0,0,1] op_sel_hi:[1,0,0]
	v_mov_b32_e32 v31, v33
	v_mov_b32_e32 v107, v105
	s_waitcnt vmcnt(1) lgkmcnt(0)
	v_pk_mul_f32 v[18:19], v[22:23], v[84:85] op_sel:[0,1]
	v_pk_add_f32 v[40:41], v[38:39], v[106:107]
	v_pk_fma_f32 v[108:109], v[22:23], v[84:85], v[18:19] op_sel:[0,0,1] op_sel_hi:[1,1,0] neg_lo:[0,0,1] neg_hi:[0,0,1]
	v_pk_fma_f32 v[22:23], v[22:23], v[84:85], v[18:19] op_sel:[0,0,1] op_sel_hi:[1,0,0]
	s_waitcnt vmcnt(0)
	v_pk_mul_f32 v[18:19], v[20:21], v[82:83] op_sel:[0,1]
	v_mov_b32_e32 v47, v45
	v_pk_fma_f32 v[110:111], v[20:21], v[82:83], v[18:19] op_sel:[0,0,1] op_sel_hi:[1,1,0] neg_lo:[0,0,1] neg_hi:[0,0,1]
	v_pk_fma_f32 v[112:113], v[20:21], v[82:83], v[18:19] op_sel:[0,0,1] op_sel_hi:[1,0,0]
	ds_read2_b64 v[18:21], v50 offset1:108
	v_mov_b32_e32 v111, v113
	v_pk_add_f32 v[44:45], v[46:47], v[110:111] neg_lo:[0,1] neg_hi:[0,1]
	v_mul_u32_u24_e32 v7, 36, v100
	v_add_lshl_u32 v7, v7, v102, 3
	s_waitcnt lgkmcnt(0)
	v_pk_add_f32 v[32:33], v[18:19], v[38:39]
	v_pk_add_f32 v[38:39], v[38:39], v[106:107] neg_lo:[0,1] neg_hi:[0,1]
	v_pk_fma_f32 v[18:19], v[40:41], 0.5, v[18:19] op_sel_hi:[1,0,1] neg_lo:[1,0,0] neg_hi:[1,0,0]
	v_pk_mul_f32 v[38:39], v[38:39], s[8:9] op_sel_hi:[1,0]
	v_pk_add_f32 v[32:33], v[32:33], v[106:107]
	v_pk_add_f32 v[40:41], v[38:39], v[18:19] op_sel:[1,0] op_sel_hi:[0,1]
	v_pk_add_f32 v[18:19], v[18:19], v[38:39] op_sel:[0,1] op_sel_hi:[1,0] neg_lo:[0,1] neg_hi:[0,1]
	v_pk_add_f32 v[38:39], v[46:47], v[110:111]
	s_nop 0
	v_pk_fma_f32 v[38:39], v[38:39], 0.5, v[30:31] op_sel_hi:[1,0,1] neg_lo:[1,0,0] neg_hi:[1,0,0]
	v_pk_add_f32 v[30:31], v[30:31], v[46:47]
	v_pk_fma_f32 v[46:47], v[44:45], s[8:9], v[38:39] op_sel:[0,0,1] op_sel_hi:[1,0,0]
	v_pk_fma_f32 v[38:39], v[44:45], s[8:9], v[38:39] op_sel:[0,0,1] op_sel_hi:[1,0,0] neg_lo:[1,0,0] neg_hi:[1,0,0]
	v_mul_f32_e32 v24, 0xbf5db3d7, v47
	v_mul_f32_e32 v22, 0x3f5db3d7, v38
	v_pk_add_f32 v[30:31], v[30:31], v[110:111]
	v_fmac_f32_e32 v22, 0.5, v47
	v_fmac_f32_e32 v24, 0.5, v38
	v_add_f32_e32 v44, v40, v22
	v_add_f32_e32 v45, v19, v24
	v_pk_add_f32 v[104:105], v[32:33], v[30:31]
	v_mov_b32_e32 v38, v46
	s_barrier
	ds_write2_b64 v7, v[104:105], v[44:45] offset1:6
	v_pk_mul_f32 v[44:45], v[38:39], 0.5 op_sel_hi:[1,0]
	v_pk_add_f32 v[30:31], v[32:33], v[30:31] neg_lo:[0,1] neg_hi:[0,1]
	v_pk_fma_f32 v[38:39], v[38:39], s[8:9], v[44:45] op_sel:[0,0,1] op_sel_hi:[1,1,0] neg_lo:[0,0,1] neg_hi:[0,0,1]
	v_mov_b32_e32 v32, v18
	v_mov_b32_e32 v33, v41
	v_pk_add_f32 v[44:45], v[32:33], v[38:39]
	ds_write2_b64 v7, v[44:45], v[30:31] offset0:12 offset1:18
	v_sub_f32_e32 v18, v40, v22
	v_sub_f32_e32 v19, v19, v24
	v_pk_add_f32 v[30:31], v[32:33], v[38:39] neg_lo:[0,1] neg_hi:[0,1]
	v_mov_b32_e32 v35, v37
	v_mov_b32_e32 v97, v99
	ds_write2_b64 v7, v[18:19], v[30:31] offset0:24 offset1:30
	v_mov_b32_e32 v109, v23
	v_pk_add_f32 v[18:19], v[34:35], v[96:97]
	v_pk_add_f32 v[22:23], v[34:35], v[96:97] neg_lo:[0,1] neg_hi:[0,1]
	v_mov_b32_e32 v43, v25
	v_pk_fma_f32 v[18:19], v[18:19], 0.5, v[20:21] op_sel_hi:[1,0,1] neg_lo:[1,0,0] neg_hi:[1,0,0]
	v_pk_mul_f32 v[22:23], v[22:23], s[8:9] op_sel_hi:[1,0]
	v_mov_b32_e32 v27, v29
	v_pk_add_f32 v[24:25], v[22:23], v[18:19] op_sel:[1,0] op_sel_hi:[0,1]
	v_pk_add_f32 v[18:19], v[18:19], v[22:23] op_sel:[0,1] op_sel_hi:[1,0] neg_lo:[0,1] neg_hi:[0,1]
	v_pk_add_f32 v[22:23], v[42:43], v[108:109]
	v_pk_add_f32 v[28:29], v[42:43], v[108:109] neg_lo:[0,1] neg_hi:[0,1]
	v_pk_fma_f32 v[22:23], v[22:23], 0.5, v[26:27] op_sel_hi:[1,0,1] neg_lo:[1,0,0] neg_hi:[1,0,0]
	v_pk_add_f32 v[20:21], v[20:21], v[34:35]
	v_pk_fma_f32 v[30:31], v[28:29], s[8:9], v[22:23] op_sel:[0,0,1] op_sel_hi:[1,0,0]
	v_pk_fma_f32 v[22:23], v[28:29], s[8:9], v[22:23] op_sel:[0,0,1] op_sel_hi:[1,0,0] neg_lo:[1,0,0] neg_hi:[1,0,0]
	v_pk_add_f32 v[26:27], v[26:27], v[42:43]
	v_mul_f32_e32 v17, 0x3f5db3d7, v22
	v_fmac_f32_e32 v17, 0.5, v31
	v_mul_f32_e32 v31, 0xbf5db3d7, v31
	v_pk_add_f32 v[20:21], v[20:21], v[96:97]
	v_pk_add_f32 v[26:27], v[26:27], v[108:109]
	v_fmac_f32_e32 v31, 0.5, v22
	v_add_f32_e32 v28, v24, v17
	v_add_f32_e32 v29, v19, v31
	v_pk_add_f32 v[32:33], v[20:21], v[26:27]
	v_mov_b32_e32 v22, v30
	ds_write2_b64 v55, v[32:33], v[28:29] offset1:6
	v_pk_mul_f32 v[28:29], v[22:23], 0.5 op_sel_hi:[1,0]
	v_pk_add_f32 v[20:21], v[20:21], v[26:27] neg_lo:[0,1] neg_hi:[0,1]
	v_pk_fma_f32 v[22:23], v[22:23], s[8:9], v[28:29] op_sel:[0,0,1] op_sel_hi:[1,1,0] neg_lo:[0,0,1] neg_hi:[0,0,1]
	v_mov_b32_e32 v26, v18
	v_mov_b32_e32 v27, v25
	v_pk_add_f32 v[28:29], v[26:27], v[22:23]
	ds_write2_b64 v55, v[28:29], v[20:21] offset0:12 offset1:18
	v_sub_f32_e32 v18, v24, v17
	v_sub_f32_e32 v19, v19, v31
	v_pk_add_f32 v[20:21], v[26:27], v[22:23] neg_lo:[0,1] neg_hi:[0,1]
	v_mov_b32_e32 v17, 57
	ds_write2_b64 v55, v[18:19], v[20:21] offset0:24 offset1:30
	v_mul_lo_u16_sdwa v18, v16, v17 dst_sel:DWORD dst_unused:UNUSED_PAD src0_sel:BYTE_0 src1_sel:DWORD
	v_lshrrev_b16_e32 v111, 11, v18
	v_mul_lo_u16_e32 v18, 36, v111
	v_sub_u16_e32 v16, v16, v18
	v_and_b32_e32 v135, 0xff, v16
	v_mad_u64_u32 v[32:33], s[12:13], v135, 40, s[10:11]
	s_waitcnt lgkmcnt(0)
	s_barrier
	global_load_dwordx4 v[20:23], v[32:33], off offset:240
	v_mul_lo_u16_sdwa v17, v54, v17 dst_sel:DWORD dst_unused:UNUSED_PAD src0_sel:BYTE_0 src1_sel:DWORD
	v_lshrrev_b16_e32 v134, 11, v17
	v_mul_lo_u16_e32 v17, 36, v134
	v_sub_u16_e32 v17, v54, v17
	v_and_b32_e32 v136, 0xff, v17
	v_mad_u64_u32 v[34:35], s[12:13], v136, 40, s[10:11]
	global_load_dwordx4 v[16:19], v[34:35], off offset:240
	global_load_dwordx4 v[28:31], v[32:33], off offset:256
	global_load_dwordx4 v[24:27], v[34:35], off offset:256
	global_load_dwordx2 v[98:99], v[32:33], off offset:272
	global_load_dwordx2 v[96:97], v[34:35], off offset:272
	ds_read2_b64 v[32:35], v101 offset0:88 offset1:196
	s_waitcnt vmcnt(5) lgkmcnt(0)
	v_pk_mul_f32 v[36:37], v[34:35], v[20:21] op_sel:[0,1]
	s_nop 0
	v_pk_fma_f32 v[40:41], v[34:35], v[20:21], v[36:37] op_sel:[0,0,1] op_sel_hi:[1,1,0] neg_lo:[0,0,1] neg_hi:[0,0,1]
	v_pk_fma_f32 v[42:43], v[34:35], v[20:21], v[36:37] op_sel:[0,0,1] op_sel_hi:[1,0,0]
	ds_read2_b64 v[34:37], v91 offset0:48 offset1:156
	s_waitcnt vmcnt(4)
	v_pk_mul_f32 v[38:39], v[32:33], v[16:17] op_sel:[0,1]
	v_mov_b32_e32 v110, v23
	v_pk_fma_f32 v[44:45], v[32:33], v[16:17], v[38:39] op_sel:[0,0,1] op_sel_hi:[1,1,0] neg_lo:[0,0,1] neg_hi:[0,0,1]
	v_pk_fma_f32 v[46:47], v[32:33], v[16:17], v[38:39] op_sel:[0,0,1] op_sel_hi:[1,0,0]
	s_waitcnt lgkmcnt(0)
	v_pk_mul_f32 v[32:33], v[36:37], v[110:111] op_sel_hi:[1,0]
	v_mov_b32_e32 v102, v19
	v_pk_fma_f32 v[106:107], v[36:37], v[22:23], v[32:33] op_sel:[0,0,1] op_sel_hi:[1,1,0] neg_lo:[0,0,1] neg_hi:[0,0,1]
	v_pk_fma_f32 v[104:105], v[36:37], v[22:23], v[32:33] op_sel:[0,0,1] op_sel_hi:[1,0,0]
	ds_read2_b64 v[36:39], v95 offset0:136 offset1:244
	v_pk_mul_f32 v[32:33], v[34:35], v[102:103] op_sel_hi:[1,0]
	s_waitcnt vmcnt(3)
	v_mov_b32_e32 v104, v31
	v_pk_fma_f32 v[108:109], v[34:35], v[18:19], v[32:33] op_sel:[0,0,1] op_sel_hi:[1,1,0] neg_lo:[0,0,1] neg_hi:[0,0,1]
	v_pk_fma_f32 v[112:113], v[34:35], v[18:19], v[32:33] op_sel:[0,0,1] op_sel_hi:[1,0,0]
	s_waitcnt lgkmcnt(0)
	v_pk_mul_f32 v[32:33], v[38:39], v[28:29] op_sel:[0,1]
	s_waitcnt vmcnt(2)
	v_pk_mul_f32 v[116:117], v[36:37], v[24:25] op_sel:[0,1]
	v_pk_fma_f32 v[114:115], v[38:39], v[28:29], v[32:33] op_sel:[0,0,1] op_sel_hi:[1,1,0] neg_lo:[0,0,1] neg_hi:[0,0,1]
	v_pk_fma_f32 v[38:39], v[38:39], v[28:29], v[32:33] op_sel:[0,0,1] op_sel_hi:[1,0,0]
	ds_read2_b64 v[32:35], v51 offset0:96 offset1:204
	v_pk_fma_f32 v[118:119], v[36:37], v[24:25], v[116:117] op_sel:[0,0,1] op_sel_hi:[1,1,0] neg_lo:[0,0,1] neg_hi:[0,0,1]
	v_pk_fma_f32 v[116:117], v[36:37], v[24:25], v[116:117] op_sel:[0,0,1] op_sel_hi:[1,0,0]
	v_mov_b32_e32 v100, v27
	v_mov_b32_e32 v109, v113
	s_waitcnt lgkmcnt(0)
	v_pk_mul_f32 v[36:37], v[34:35], v[104:105] op_sel_hi:[1,0]
	v_pk_mul_f32 v[124:125], v[32:33], v[100:101] op_sel_hi:[1,0]
	v_pk_fma_f32 v[120:121], v[34:35], v[30:31], v[36:37] op_sel:[0,0,1] op_sel_hi:[1,1,0] neg_lo:[0,0,1] neg_hi:[0,0,1]
	v_pk_fma_f32 v[122:123], v[34:35], v[30:31], v[36:37] op_sel:[0,0,1] op_sel_hi:[1,0,0]
	ds_read2_b64 v[34:37], v93 offset0:56 offset1:164
	v_pk_fma_f32 v[126:127], v[32:33], v[26:27], v[124:125] op_sel:[0,0,1] op_sel_hi:[1,1,0] neg_lo:[0,0,1] neg_hi:[0,0,1]
	v_pk_fma_f32 v[124:125], v[32:33], v[26:27], v[124:125] op_sel:[0,0,1] op_sel_hi:[1,0,0]
	v_mov_b32_e32 v45, v47
	v_mov_b32_e32 v127, v125
	s_waitcnt vmcnt(1) lgkmcnt(0)
	v_pk_mul_f32 v[32:33], v[36:37], v[98:99] op_sel:[0,1]
	v_pk_add_f32 v[112:113], v[108:109], v[126:127]
	v_pk_fma_f32 v[128:129], v[36:37], v[98:99], v[32:33] op_sel:[0,0,1] op_sel_hi:[1,1,0] neg_lo:[0,0,1] neg_hi:[0,0,1]
	v_pk_fma_f32 v[36:37], v[36:37], v[98:99], v[32:33] op_sel:[0,0,1] op_sel_hi:[1,0,0]
	s_waitcnt vmcnt(0)
	v_pk_mul_f32 v[32:33], v[34:35], v[96:97] op_sel:[0,1]
	v_mov_b32_e32 v119, v117
	v_pk_fma_f32 v[130:131], v[34:35], v[96:97], v[32:33] op_sel:[0,0,1] op_sel_hi:[1,1,0] neg_lo:[0,0,1] neg_hi:[0,0,1]
	v_pk_fma_f32 v[132:133], v[34:35], v[96:97], v[32:33] op_sel:[0,0,1] op_sel_hi:[1,0,0]
	ds_read2_b64 v[32:35], v50 offset1:108
	v_mov_b32_e32 v131, v133
	v_pk_add_f32 v[116:117], v[118:119], v[130:131] neg_lo:[0,1] neg_hi:[0,1]
	v_mul_u32_u24_e32 v23, 0xd8, v134
	v_add_lshl_u32 v23, v23, v136, 3
	s_waitcnt lgkmcnt(0)
	v_pk_add_f32 v[46:47], v[32:33], v[108:109]
	v_pk_add_f32 v[108:109], v[108:109], v[126:127] neg_lo:[0,1] neg_hi:[0,1]
	v_pk_fma_f32 v[32:33], v[112:113], 0.5, v[32:33] op_sel_hi:[1,0,1] neg_lo:[1,0,0] neg_hi:[1,0,0]
	v_pk_mul_f32 v[108:109], v[108:109], s[8:9] op_sel_hi:[1,0]
	v_pk_add_f32 v[46:47], v[46:47], v[126:127]
	v_pk_add_f32 v[112:113], v[108:109], v[32:33] op_sel:[1,0] op_sel_hi:[0,1]
	v_pk_add_f32 v[32:33], v[32:33], v[108:109] op_sel:[0,1] op_sel_hi:[1,0] neg_lo:[0,1] neg_hi:[0,1]
	v_pk_add_f32 v[108:109], v[118:119], v[130:131]
	s_nop 0
	v_pk_fma_f32 v[108:109], v[108:109], 0.5, v[44:45] op_sel_hi:[1,0,1] neg_lo:[1,0,0] neg_hi:[1,0,0]
	v_pk_add_f32 v[44:45], v[44:45], v[118:119]
	v_pk_fma_f32 v[118:119], v[116:117], s[8:9], v[108:109] op_sel:[0,0,1] op_sel_hi:[1,0,0]
	v_pk_fma_f32 v[108:109], v[116:117], s[8:9], v[108:109] op_sel:[0,0,1] op_sel_hi:[1,0,0] neg_lo:[1,0,0] neg_hi:[1,0,0]
	v_mul_f32_e32 v38, 0xbf5db3d7, v119
	v_mul_f32_e32 v36, 0x3f5db3d7, v108
	v_pk_add_f32 v[44:45], v[44:45], v[130:131]
	v_fmac_f32_e32 v36, 0.5, v119
	v_fmac_f32_e32 v38, 0.5, v108
	v_add_f32_e32 v116, v112, v36
	v_add_f32_e32 v117, v33, v38
	v_pk_add_f32 v[124:125], v[46:47], v[44:45]
	v_mov_b32_e32 v108, v118
	s_barrier
	ds_write2_b64 v23, v[124:125], v[116:117] offset1:36
	v_pk_mul_f32 v[116:117], v[108:109], 0.5 op_sel_hi:[1,0]
	v_pk_add_f32 v[44:45], v[46:47], v[44:45] neg_lo:[0,1] neg_hi:[0,1]
	v_pk_fma_f32 v[108:109], v[108:109], s[8:9], v[116:117] op_sel:[0,0,1] op_sel_hi:[1,1,0] neg_lo:[0,0,1] neg_hi:[0,0,1]
	v_mov_b32_e32 v46, v32
	v_mov_b32_e32 v47, v113
	v_pk_add_f32 v[116:117], v[46:47], v[108:109]
	ds_write2_b64 v23, v[116:117], v[44:45] offset0:72 offset1:108
	v_sub_f32_e32 v32, v112, v36
	v_sub_f32_e32 v33, v33, v38
	v_pk_add_f32 v[44:45], v[46:47], v[108:109] neg_lo:[0,1] neg_hi:[0,1]
	v_mov_b32_e32 v107, v105
	v_mov_b32_e32 v121, v123
	ds_write2_b64 v23, v[32:33], v[44:45] offset0:144 offset1:180
	v_mov_b32_e32 v129, v37
	v_pk_add_f32 v[32:33], v[106:107], v[120:121]
	v_pk_add_f32 v[36:37], v[106:107], v[120:121] neg_lo:[0,1] neg_hi:[0,1]
	v_mov_b32_e32 v115, v39
	v_pk_fma_f32 v[32:33], v[32:33], 0.5, v[34:35] op_sel_hi:[1,0,1] neg_lo:[1,0,0] neg_hi:[1,0,0]
	v_pk_mul_f32 v[36:37], v[36:37], s[8:9] op_sel_hi:[1,0]
	v_mov_b32_e32 v41, v43
	v_pk_add_f32 v[38:39], v[36:37], v[32:33] op_sel:[1,0] op_sel_hi:[0,1]
	v_pk_add_f32 v[32:33], v[32:33], v[36:37] op_sel:[0,1] op_sel_hi:[1,0] neg_lo:[0,1] neg_hi:[0,1]
	v_pk_add_f32 v[36:37], v[114:115], v[128:129]
	v_pk_add_f32 v[42:43], v[114:115], v[128:129] neg_lo:[0,1] neg_hi:[0,1]
	v_pk_fma_f32 v[36:37], v[36:37], 0.5, v[40:41] op_sel_hi:[1,0,1] neg_lo:[1,0,0] neg_hi:[1,0,0]
	v_pk_add_f32 v[34:35], v[34:35], v[106:107]
	v_pk_fma_f32 v[44:45], v[42:43], s[8:9], v[36:37] op_sel:[0,0,1] op_sel_hi:[1,0,0]
	v_pk_fma_f32 v[36:37], v[42:43], s[8:9], v[36:37] op_sel:[0,0,1] op_sel_hi:[1,0,0] neg_lo:[1,0,0] neg_hi:[1,0,0]
	v_pk_add_f32 v[40:41], v[40:41], v[114:115]
	v_mul_f32_e32 v106, 0x3f5db3d7, v36
	v_fmac_f32_e32 v106, 0.5, v45
	v_mul_f32_e32 v45, 0xbf5db3d7, v45
	v_pk_add_f32 v[34:35], v[34:35], v[120:121]
	v_pk_add_f32 v[40:41], v[40:41], v[128:129]
	v_mul_u32_u24_e32 v42, 0xd8, v111
	v_fmac_f32_e32 v45, 0.5, v36
	v_add_lshl_u32 v105, v42, v135, 3
	v_add_f32_e32 v42, v38, v106
	v_add_f32_e32 v43, v33, v45
	v_pk_add_f32 v[46:47], v[34:35], v[40:41]
	v_mov_b32_e32 v36, v44
	ds_write2_b64 v105, v[46:47], v[42:43] offset1:36
	v_pk_mul_f32 v[42:43], v[36:37], 0.5 op_sel_hi:[1,0]
	v_pk_add_f32 v[34:35], v[34:35], v[40:41] neg_lo:[0,1] neg_hi:[0,1]
	v_pk_fma_f32 v[36:37], v[36:37], s[8:9], v[42:43] op_sel:[0,0,1] op_sel_hi:[1,1,0] neg_lo:[0,0,1] neg_hi:[0,0,1]
	v_mov_b32_e32 v40, v32
	v_mov_b32_e32 v41, v39
	v_pk_add_f32 v[42:43], v[40:41], v[36:37]
	ds_write2_b64 v105, v[42:43], v[34:35] offset0:72 offset1:108
	v_sub_f32_e32 v32, v38, v106
	v_sub_f32_e32 v33, v33, v45
	v_pk_add_f32 v[34:35], v[40:41], v[36:37] neg_lo:[0,1] neg_hi:[0,1]
	v_mad_u64_u32 v[112:113], s[10:11], v54, 40, s[10:11]
	ds_write2_b64 v105, v[32:33], v[34:35] offset0:144 offset1:180
	s_waitcnt lgkmcnt(0)
	s_barrier
	global_load_dwordx4 v[36:39], v[112:113], off offset:1680
	v_add_co_u32_e32 v40, vcc, s14, v112
	s_mov_b64 s[10:11], 0x1770
	s_nop 0
	v_addc_co_u32_e32 v41, vcc, 0, v113, vcc
	global_load_dwordx4 v[32:35], v[40:41], off offset:1904
	global_load_dwordx4 v[44:47], v[112:113], off offset:1696
	v_lshl_add_u64 v[114:115], v[112:113], 0, s[10:11]
	global_load_dwordx4 v[40:43], v[114:115], off offset:16
	global_load_dwordx2 v[108:109], v[112:113], off offset:1712
	global_load_dwordx2 v[106:107], v[114:115], off offset:32
	ds_read2_b64 v[112:115], v101 offset0:88 offset1:196
	ds_read2_b64 v[120:123], v91 offset0:48 offset1:156
	;; [unrolled: 1-line block ×3, first 2 shown]
	s_mov_b64 s[10:11], 0x2880
	s_waitcnt vmcnt(5) lgkmcnt(2)
	v_pk_mul_f32 v[116:117], v[112:113], v[36:37] op_sel:[0,1]
	s_nop 0
	v_pk_fma_f32 v[128:129], v[112:113], v[36:37], v[116:117] op_sel:[0,0,1] op_sel_hi:[1,1,0] neg_lo:[0,0,1] neg_hi:[0,0,1]
	v_pk_fma_f32 v[112:113], v[112:113], v[36:37], v[116:117] op_sel:[0,0,1] op_sel_hi:[1,0,0]
	v_mov_b32_e32 v118, v39
	v_mov_b32_e32 v129, v113
	s_waitcnt vmcnt(4)
	v_pk_mul_f32 v[116:117], v[114:115], v[32:33] op_sel:[0,1]
	s_waitcnt vmcnt(2) lgkmcnt(0)
	v_pk_mul_f32 v[140:141], v[126:127], v[40:41] op_sel:[0,1]
	v_pk_fma_f32 v[130:131], v[114:115], v[32:33], v[116:117] op_sel:[0,0,1] op_sel_hi:[1,1,0] neg_lo:[0,0,1] neg_hi:[0,0,1]
	v_pk_fma_f32 v[114:115], v[114:115], v[32:33], v[116:117] op_sel:[0,0,1] op_sel_hi:[1,0,0]
	v_pk_mul_f32 v[116:117], v[120:121], v[118:119] op_sel_hi:[1,0]
	v_mov_b32_e32 v114, v35
	v_pk_fma_f32 v[132:133], v[120:121], v[38:39], v[116:117] op_sel:[0,0,1] op_sel_hi:[1,1,0] neg_lo:[0,0,1] neg_hi:[0,0,1]
	v_pk_fma_f32 v[116:117], v[120:121], v[38:39], v[116:117] op_sel:[0,0,1] op_sel_hi:[1,0,0]
	v_pk_mul_f32 v[120:121], v[122:123], v[114:115] op_sel_hi:[1,0]
	v_mov_b32_e32 v116, v47
	v_pk_fma_f32 v[134:135], v[122:123], v[34:35], v[120:121] op_sel:[0,0,1] op_sel_hi:[1,1,0] neg_lo:[0,0,1] neg_hi:[0,0,1]
	v_pk_fma_f32 v[136:137], v[122:123], v[34:35], v[120:121] op_sel:[0,0,1] op_sel_hi:[1,0,0]
	v_pk_mul_f32 v[120:121], v[124:125], v[44:45] op_sel:[0,1]
	v_pk_fma_f32 v[142:143], v[126:127], v[40:41], v[140:141] op_sel:[0,0,1] op_sel_hi:[1,1,0] neg_lo:[0,0,1] neg_hi:[0,0,1]
	v_pk_fma_f32 v[138:139], v[124:125], v[44:45], v[120:121] op_sel:[0,0,1] op_sel_hi:[1,1,0] neg_lo:[0,0,1] neg_hi:[0,0,1]
	v_pk_fma_f32 v[124:125], v[124:125], v[44:45], v[120:121] op_sel:[0,0,1] op_sel_hi:[1,0,0]
	ds_read2_b64 v[120:123], v51 offset0:96 offset1:204
	v_pk_fma_f32 v[126:127], v[126:127], v[40:41], v[140:141] op_sel:[0,0,1] op_sel_hi:[1,0,0]
	v_mov_b32_e32 v112, v43
	v_mov_b32_e32 v133, v117
	;; [unrolled: 1-line block ×3, first 2 shown]
	s_waitcnt lgkmcnt(0)
	v_pk_mul_f32 v[140:141], v[120:121], v[116:117] op_sel_hi:[1,0]
	v_mov_b32_e32 v143, v127
	v_pk_fma_f32 v[144:145], v[120:121], v[46:47], v[140:141] op_sel:[0,0,1] op_sel_hi:[1,1,0] neg_lo:[0,0,1] neg_hi:[0,0,1]
	v_pk_fma_f32 v[140:141], v[120:121], v[46:47], v[140:141] op_sel:[0,0,1] op_sel_hi:[1,0,0]
	v_pk_mul_f32 v[120:121], v[122:123], v[112:113] op_sel_hi:[1,0]
	v_mov_b32_e32 v145, v141
	v_pk_fma_f32 v[146:147], v[122:123], v[42:43], v[120:121] op_sel:[0,0,1] op_sel_hi:[1,1,0] neg_lo:[0,0,1] neg_hi:[0,0,1]
	v_pk_fma_f32 v[148:149], v[122:123], v[42:43], v[120:121] op_sel:[0,0,1] op_sel_hi:[1,0,0]
	ds_read2_b64 v[120:123], v93 offset0:56 offset1:164
	v_pk_add_f32 v[126:127], v[132:133], v[144:145]
	v_mov_b32_e32 v135, v137
	v_mov_b32_e32 v131, v115
	;; [unrolled: 1-line block ×3, first 2 shown]
	s_waitcnt vmcnt(1) lgkmcnt(0)
	v_pk_mul_f32 v[150:151], v[120:121], v[108:109] op_sel:[0,1]
	s_nop 0
	v_pk_fma_f32 v[152:153], v[120:121], v[108:109], v[150:151] op_sel:[0,0,1] op_sel_hi:[1,1,0] neg_lo:[0,0,1] neg_hi:[0,0,1]
	v_pk_fma_f32 v[120:121], v[120:121], v[108:109], v[150:151] op_sel:[0,0,1] op_sel_hi:[1,0,0]
	s_waitcnt vmcnt(0)
	v_pk_mul_f32 v[150:151], v[122:123], v[106:107] op_sel:[0,1]
	v_mov_b32_e32 v153, v121
	v_pk_fma_f32 v[154:155], v[122:123], v[106:107], v[150:151] op_sel:[0,0,1] op_sel_hi:[1,1,0] neg_lo:[0,0,1] neg_hi:[0,0,1]
	v_pk_fma_f32 v[150:151], v[122:123], v[106:107], v[150:151] op_sel:[0,0,1] op_sel_hi:[1,0,0]
	ds_read2_b64 v[120:123], v50 offset1:108
	v_pk_add_f32 v[136:137], v[138:139], v[152:153] neg_lo:[0,1] neg_hi:[0,1]
	v_mov_b32_e32 v155, v151
	s_waitcnt lgkmcnt(0)
	v_pk_add_f32 v[124:125], v[120:121], v[132:133]
	v_pk_add_f32 v[132:133], v[132:133], v[144:145] neg_lo:[0,1] neg_hi:[0,1]
	v_pk_fma_f32 v[120:121], v[126:127], 0.5, v[120:121] op_sel_hi:[1,0,1] neg_lo:[1,0,0] neg_hi:[1,0,0]
	v_pk_mul_f32 v[126:127], v[132:133], s[8:9] op_sel_hi:[1,0]
	v_pk_add_f32 v[124:125], v[124:125], v[144:145]
	v_pk_add_f32 v[132:133], v[126:127], v[120:121] op_sel:[1,0] op_sel_hi:[0,1]
	v_pk_add_f32 v[120:121], v[120:121], v[126:127] op_sel:[0,1] op_sel_hi:[1,0] neg_lo:[0,1] neg_hi:[0,1]
	v_pk_add_f32 v[126:127], v[138:139], v[152:153]
	s_nop 0
	v_pk_fma_f32 v[126:127], v[126:127], 0.5, v[128:129] op_sel_hi:[1,0,1] neg_lo:[1,0,0] neg_hi:[1,0,0]
	v_pk_add_f32 v[128:129], v[128:129], v[138:139]
	v_pk_fma_f32 v[138:139], v[136:137], s[8:9], v[126:127] op_sel:[0,0,1] op_sel_hi:[1,0,0]
	v_pk_fma_f32 v[126:127], v[136:137], s[8:9], v[126:127] op_sel:[0,0,1] op_sel_hi:[1,0,0] neg_lo:[1,0,0] neg_hi:[1,0,0]
	v_mul_f32_e32 v111, 0xbf5db3d7, v139
	v_mul_f32_e32 v39, 0x3f5db3d7, v126
	v_fmac_f32_e32 v39, 0.5, v139
	v_fmac_f32_e32 v111, 0.5, v126
	v_mov_b32_e32 v126, v138
	v_add_f32_e32 v136, v132, v39
	v_add_f32_e32 v137, v121, v111
	v_sub_f32_e32 v140, v132, v39
	v_sub_f32_e32 v141, v121, v111
	v_mov_b32_e32 v132, v120
	v_pk_mul_f32 v[120:121], v[126:127], 0.5 op_sel_hi:[1,0]
	v_pk_add_f32 v[128:129], v[128:129], v[152:153]
	v_pk_fma_f32 v[120:121], v[126:127], s[8:9], v[120:121] op_sel:[0,0,1] op_sel_hi:[1,1,0] neg_lo:[0,0,1] neg_hi:[0,0,1]
	ds_write_b64 v50, v[136:137] offset:1728
	v_pk_add_f32 v[126:127], v[132:133], v[120:121]
	ds_write_b64 v50, v[126:127] offset:3456
	v_pk_add_f32 v[126:127], v[124:125], v[128:129]
	v_pk_add_f32 v[124:125], v[124:125], v[128:129] neg_lo:[0,1] neg_hi:[0,1]
	v_pk_add_f32 v[120:121], v[132:133], v[120:121] neg_lo:[0,1] neg_hi:[0,1]
	ds_write_b64 v50, v[124:125] offset:5184
	ds_write_b64 v50, v[140:141] offset:6912
	ds_write_b64 v50, v[120:121] offset:8640
	v_pk_add_f32 v[120:121], v[122:123], v[134:135]
	v_pk_add_f32 v[124:125], v[130:131], v[142:143]
	;; [unrolled: 1-line block ×4, first 2 shown]
	s_nop 0
	v_pk_add_f32 v[128:129], v[120:121], v[124:125]
	ds_write2_b64 v50, v[126:127], v[128:129] offset1:108
	v_pk_add_f32 v[126:127], v[134:135], v[146:147]
	v_pk_add_f32 v[120:121], v[120:121], v[124:125] neg_lo:[0,1] neg_hi:[0,1]
	v_pk_fma_f32 v[122:123], v[126:127], 0.5, v[122:123] op_sel_hi:[1,0,1] neg_lo:[1,0,0] neg_hi:[1,0,0]
	v_pk_add_f32 v[126:127], v[134:135], v[146:147] neg_lo:[0,1] neg_hi:[0,1]
	s_nop 0
	v_pk_mul_f32 v[126:127], v[126:127], s[8:9] op_sel_hi:[1,0]
	s_nop 0
	v_pk_add_f32 v[128:129], v[126:127], v[122:123] op_sel:[1,0] op_sel_hi:[0,1]
	v_pk_add_f32 v[122:123], v[122:123], v[126:127] op_sel:[0,1] op_sel_hi:[1,0] neg_lo:[0,1] neg_hi:[0,1]
	v_pk_add_f32 v[126:127], v[142:143], v[154:155]
	s_nop 0
	v_pk_fma_f32 v[126:127], v[126:127], 0.5, v[130:131] op_sel_hi:[1,0,1] neg_lo:[1,0,0] neg_hi:[1,0,0]
	v_pk_add_f32 v[130:131], v[142:143], v[154:155] neg_lo:[0,1] neg_hi:[0,1]
	s_nop 0
	v_pk_fma_f32 v[132:133], v[130:131], s[8:9], v[126:127] op_sel:[0,0,1] op_sel_hi:[1,0,0]
	v_pk_fma_f32 v[126:127], v[130:131], s[8:9], v[126:127] op_sel:[0,0,1] op_sel_hi:[1,0,0] neg_lo:[1,0,0] neg_hi:[1,0,0]
	v_mul_f32_e32 v111, 0xbf5db3d7, v133
	v_mul_f32_e32 v39, 0x3f5db3d7, v126
	v_fmac_f32_e32 v39, 0.5, v133
	v_fmac_f32_e32 v111, 0.5, v126
	v_mov_b32_e32 v126, v132
	v_add_f32_e32 v130, v128, v39
	v_add_f32_e32 v131, v123, v111
	v_sub_f32_e32 v134, v128, v39
	v_sub_f32_e32 v135, v123, v111
	v_mov_b32_e32 v128, v122
	v_pk_mul_f32 v[122:123], v[126:127], 0.5 op_sel_hi:[1,0]
	ds_write_b64 v50, v[130:131] offset:2592
	v_pk_fma_f32 v[122:123], v[126:127], s[8:9], v[122:123] op_sel:[0,0,1] op_sel_hi:[1,1,0] neg_lo:[0,0,1] neg_hi:[0,0,1]
	s_nop 0
	v_pk_add_f32 v[126:127], v[128:129], v[122:123]
	ds_write_b64 v50, v[126:127] offset:4320
	ds_write_b64 v50, v[120:121] offset:6048
	;; [unrolled: 1-line block ×3, first 2 shown]
	v_pk_add_f32 v[120:121], v[128:129], v[122:123] neg_lo:[0,1] neg_hi:[0,1]
	ds_write_b64 v50, v[120:121] offset:9504
	s_waitcnt lgkmcnt(0)
	s_barrier
	global_load_dwordx2 v[86:87], v[86:87], off offset:2176
	v_lshl_add_u64 v[120:121], v[80:81], 0, s[10:11]
	global_load_dwordx2 v[128:129], v[120:121], off offset:864
	global_load_dwordx2 v[130:131], v[120:121], off offset:1728
	;; [unrolled: 1-line block ×4, first 2 shown]
	s_movk_i32 s10, 0x3000
	v_add_co_u32_e32 v120, vcc, s10, v80
	s_movk_i32 s10, 0x4000
	s_nop 0
	v_addc_co_u32_e32 v121, vcc, 0, v81, vcc
	global_load_dwordx2 v[136:137], v[120:121], off offset:2400
	global_load_dwordx2 v[138:139], v[120:121], off offset:3264
	v_add_co_u32_e32 v80, vcc, s10, v80
	s_mov_b32 s10, -0.5
	s_nop 0
	v_addc_co_u32_e32 v81, vcc, 0, v81, vcc
	global_load_dwordx2 v[140:141], v[80:81], off offset:32
	global_load_dwordx2 v[142:143], v[80:81], off offset:896
	;; [unrolled: 1-line block ×4, first 2 shown]
	s_nop 0
	global_load_dwordx2 v[80:81], v[80:81], off offset:3488
	ds_read2_b64 v[120:123], v50 offset1:108
	s_mov_b32 s11, s8
	s_waitcnt vmcnt(11) lgkmcnt(0)
	v_mul_f32_e32 v39, v121, v87
	v_mul_f32_e32 v125, v120, v87
	v_fma_f32 v124, v120, v86, -v39
	v_fmac_f32_e32 v125, v121, v86
	ds_write_b64 v50, v[124:125]
	ds_read2_b64 v[124:127], v101 offset0:88 offset1:196
	s_waitcnt vmcnt(10)
	v_mul_f32_e32 v39, v123, v129
	v_mul_f32_e32 v87, v122, v129
	v_fma_f32 v86, v122, v128, -v39
	v_fmac_f32_e32 v87, v123, v128
	s_waitcnt vmcnt(9) lgkmcnt(0)
	v_mul_f32_e32 v39, v125, v131
	ds_read2_b64 v[120:123], v91 offset0:48 offset1:156
	v_fma_f32 v128, v124, v130, -v39
	v_mul_f32_e32 v129, v124, v131
	s_waitcnt vmcnt(8)
	v_mul_f32_e32 v39, v127, v133
	v_mul_f32_e32 v131, v126, v133
	v_fmac_f32_e32 v129, v125, v130
	v_fma_f32 v130, v126, v132, -v39
	v_fmac_f32_e32 v131, v127, v132
	ds_read2_b64 v[124:127], v95 offset0:136 offset1:244
	s_waitcnt vmcnt(7) lgkmcnt(1)
	v_mul_f32_e32 v39, v121, v135
	v_fma_f32 v132, v120, v134, -v39
	v_mul_f32_e32 v133, v120, v135
	s_waitcnt vmcnt(6)
	v_mul_f32_e32 v39, v123, v137
	v_mul_f32_e32 v135, v122, v137
	v_fmac_f32_e32 v133, v121, v134
	v_fma_f32 v134, v122, v136, -v39
	v_fmac_f32_e32 v135, v123, v136
	s_waitcnt vmcnt(5) lgkmcnt(0)
	v_mul_f32_e32 v39, v125, v139
	ds_read2_b64 v[120:123], v51 offset0:96 offset1:204
	v_fma_f32 v136, v124, v138, -v39
	v_mul_f32_e32 v137, v124, v139
	s_waitcnt vmcnt(4)
	v_mul_f32_e32 v39, v127, v141
	v_mul_f32_e32 v139, v126, v141
	v_fmac_f32_e32 v137, v125, v138
	v_fma_f32 v138, v126, v140, -v39
	v_fmac_f32_e32 v139, v127, v140
	ds_read2_b64 v[124:127], v93 offset0:56 offset1:164
	s_waitcnt vmcnt(3) lgkmcnt(1)
	v_mul_f32_e32 v39, v121, v143
	v_fma_f32 v140, v120, v142, -v39
	s_waitcnt vmcnt(2)
	v_mul_f32_e32 v39, v123, v145
	v_mul_f32_e32 v141, v120, v143
	v_fma_f32 v120, v122, v144, -v39
	s_waitcnt vmcnt(1) lgkmcnt(0)
	v_mul_f32_e32 v39, v125, v147
	v_fmac_f32_e32 v141, v121, v142
	v_mul_f32_e32 v121, v122, v145
	v_fma_f32 v122, v124, v146, -v39
	s_waitcnt vmcnt(0)
	v_mul_f32_e32 v39, v127, v81
	v_fmac_f32_e32 v121, v123, v144
	v_mul_f32_e32 v123, v124, v147
	v_fma_f32 v124, v126, v80, -v39
	v_add_u32_e32 v39, 0x800, v50
	v_fmac_f32_e32 v123, v125, v146
	v_mul_f32_e32 v125, v126, v81
	ds_write2_b64 v39, v[130:131], v[132:133] offset0:68 offset1:176
	v_add_u32_e32 v39, 0x1400, v50
	v_fmac_f32_e32 v125, v127, v80
	ds_write2_b64 v39, v[138:139], v[140:141] offset0:116 offset1:224
	v_add_u32_e32 v39, 0x1c00, v50
	ds_write2_b64 v39, v[120:121], v[122:123] offset0:76 offset1:184
	ds_write2_b64 v50, v[86:87], v[128:129] offset0:108 offset1:216
	;; [unrolled: 1-line block ×3, first 2 shown]
	ds_write_b64 v50, v[124:125] offset:9504
	s_waitcnt lgkmcnt(0)
	s_barrier
	ds_read2_b64 v[120:123], v91 offset0:48 offset1:156
	ds_read2_b64 v[124:127], v51 offset0:96 offset1:204
	ds_read2_b64 v[128:131], v50 offset1:108
	ds_read2_b64 v[132:135], v95 offset0:136 offset1:244
	ds_read2_b64 v[136:139], v93 offset0:56 offset1:164
	;; [unrolled: 1-line block ×3, first 2 shown]
	s_waitcnt lgkmcnt(0)
	s_barrier
	v_pk_add_f32 v[80:81], v[120:121], v[124:125]
	v_pk_add_f32 v[86:87], v[120:121], v[124:125] neg_lo:[0,1] neg_hi:[0,1]
	v_pk_fma_f32 v[80:81], v[80:81], 0.5, v[128:129] op_sel_hi:[1,0,1] neg_lo:[1,0,0] neg_hi:[1,0,0]
	v_pk_mul_f32 v[86:87], v[86:87], s[8:9] op_sel_hi:[1,0]
	v_pk_add_f32 v[152:153], v[132:133], v[136:137] neg_lo:[0,1] neg_hi:[0,1]
	v_pk_add_f32 v[148:149], v[80:81], v[86:87] op_sel:[0,1] op_sel_hi:[1,0] neg_lo:[0,1] neg_hi:[0,1]
	v_pk_add_f32 v[80:81], v[80:81], v[86:87] op_sel:[0,1] op_sel_hi:[1,0]
	v_pk_add_f32 v[86:87], v[132:133], v[136:137]
	v_pk_add_f32 v[120:121], v[128:129], v[120:121]
	v_fma_f32 v150, -0.5, v87, v141
	v_fma_f32 v86, -0.5, v86, v140
	v_fmamk_f32 v144, v152, 0x3f5db3d7, v150
	v_pk_mul_f32 v[144:145], v[144:145], s[2:3] op_sel_hi:[0,1]
	v_fmamk_f32 v146, v153, 0xbf5db3d7, v86
	v_pk_fma_f32 v[154:155], v[146:147], s[6:7], v[144:145] neg_lo:[0,0,1] neg_hi:[0,0,1]
	v_pk_fma_f32 v[144:145], v[146:147], s[6:7], v[144:145] op_sel_hi:[0,1,1]
	v_pk_add_f32 v[120:121], v[120:121], v[124:125]
	v_pk_add_f32 v[124:125], v[140:141], v[132:133]
	v_fmac_f32_e32 v150, 0xbf5db3d7, v152
	v_mov_b32_e32 v155, v145
	v_pk_add_f32 v[124:125], v[124:125], v[136:137]
	v_mov_b32_e32 v128, v148
	v_mov_b32_e32 v129, v81
	v_fmac_f32_e32 v86, 0x3f5db3d7, v153
	v_pk_mul_f32 v[132:133], v[150:151], s[2:3] op_sel_hi:[0,1]
	v_pk_add_f32 v[144:145], v[120:121], v[124:125]
	v_pk_add_f32 v[146:147], v[128:129], v[154:155]
	v_pk_fma_f32 v[86:87], v[86:87], s[10:11], v[132:133] op_sel_hi:[0,1,1] neg_lo:[0,0,1] neg_hi:[0,0,1]
	v_mov_b32_e32 v81, v149
	ds_write_b128 v103, v[144:147]
	v_pk_add_f32 v[146:147], v[120:121], v[124:125] neg_lo:[0,1] neg_hi:[0,1]
	v_pk_add_f32 v[144:145], v[80:81], v[86:87]
	ds_write_b128 v103, v[144:147] offset:16
	v_pk_add_f32 v[146:147], v[80:81], v[86:87] neg_lo:[0,1] neg_hi:[0,1]
	v_pk_add_f32 v[80:81], v[130:131], v[122:123]
	v_pk_add_f32 v[86:87], v[122:123], v[126:127]
	v_pk_add_f32 v[120:121], v[122:123], v[126:127] neg_lo:[0,1] neg_hi:[0,1]
	v_pk_add_f32 v[122:123], v[134:135], v[138:139]
	v_pk_add_f32 v[124:125], v[134:135], v[138:139] neg_lo:[0,1] neg_hi:[0,1]
	v_fma_f32 v132, -0.5, v123, v143
	v_pk_fma_f32 v[86:87], v[86:87], 0.5, v[130:131] op_sel_hi:[1,0,1] neg_lo:[1,0,0] neg_hi:[1,0,0]
	v_pk_mul_f32 v[120:121], v[120:121], s[8:9] op_sel_hi:[1,0]
	v_pk_add_f32 v[144:145], v[128:129], v[154:155] neg_lo:[0,1] neg_hi:[0,1]
	v_fma_f32 v128, -0.5, v122, v142
	v_pk_add_f32 v[130:131], v[86:87], v[120:121] op_sel:[0,1] op_sel_hi:[1,0] neg_lo:[0,1] neg_hi:[0,1]
	v_pk_add_f32 v[86:87], v[86:87], v[120:121] op_sel:[0,1] op_sel_hi:[1,0]
	v_fmamk_f32 v120, v124, 0x3f5db3d7, v132
	v_pk_mul_f32 v[120:121], v[120:121], s[2:3] op_sel_hi:[0,1]
	v_fmamk_f32 v122, v125, 0xbf5db3d7, v128
	v_pk_add_f32 v[80:81], v[80:81], v[126:127]
	v_pk_add_f32 v[126:127], v[142:143], v[134:135]
	v_pk_fma_f32 v[134:135], v[122:123], s[6:7], v[120:121] neg_lo:[0,0,1] neg_hi:[0,0,1]
	v_pk_fma_f32 v[120:121], v[122:123], s[6:7], v[120:121] op_sel_hi:[0,1,1]
	v_pk_add_f32 v[126:127], v[126:127], v[138:139]
	v_mov_b32_e32 v135, v121
	v_mov_b32_e32 v136, v130
	;; [unrolled: 1-line block ×3, first 2 shown]
	v_pk_add_f32 v[120:121], v[80:81], v[126:127]
	v_pk_add_f32 v[122:123], v[136:137], v[134:135]
	v_fmac_f32_e32 v132, 0xbf5db3d7, v124
	ds_write_b128 v103, v[144:147] offset:32
	ds_write_b128 v49, v[120:123]
	v_fmac_f32_e32 v128, 0x3f5db3d7, v125
	v_pk_mul_f32 v[120:121], v[132:133], s[2:3] op_sel_hi:[0,1]
	v_pk_fma_f32 v[124:125], v[128:129], s[10:11], v[120:121] op_sel_hi:[0,1,1] neg_lo:[0,0,1] neg_hi:[0,0,1]
	v_mov_b32_e32 v87, v131
	v_pk_add_f32 v[122:123], v[80:81], v[126:127] neg_lo:[0,1] neg_hi:[0,1]
	v_pk_add_f32 v[120:121], v[86:87], v[124:125]
	ds_write_b128 v49, v[120:123] offset:16
	v_pk_add_f32 v[120:121], v[136:137], v[134:135] neg_lo:[0,1] neg_hi:[0,1]
	v_pk_add_f32 v[122:123], v[86:87], v[124:125] neg_lo:[0,1] neg_hi:[0,1]
	ds_write_b128 v49, v[120:123] offset:32
	s_waitcnt lgkmcnt(0)
	s_barrier
	ds_read2_b64 v[120:123], v101 offset0:88 offset1:196
	ds_read2_b64 v[124:127], v91 offset0:48 offset1:156
	v_mov_b32_e32 v49, v58
	s_waitcnt lgkmcnt(1)
	v_pk_mul_f32 v[80:81], v[4:5], v[122:123] op_sel:[1,0]
	s_nop 0
	v_pk_fma_f32 v[86:87], v[4:5], v[122:123], v[80:81] op_sel:[0,0,1] op_sel_hi:[0,1,0]
	v_pk_fma_f32 v[4:5], v[4:5], v[122:123], v[80:81] op_sel:[0,0,1] op_sel_hi:[0,1,0] neg_lo:[0,0,1] neg_hi:[0,0,1]
	v_pk_mul_f32 v[122:123], v[0:1], v[120:121] op_sel:[1,0]
	s_waitcnt lgkmcnt(0)
	v_pk_mul_f32 v[80:81], v[94:95], v[126:127] op_sel_hi:[0,1]
	v_pk_fma_f32 v[132:133], v[0:1], v[120:121], v[122:123] op_sel:[0,0,1] op_sel_hi:[0,1,0]
	v_pk_fma_f32 v[134:135], v[0:1], v[120:121], v[122:123] op_sel:[0,0,1] op_sel_hi:[0,1,0] neg_lo:[0,0,1] neg_hi:[0,0,1]
	ds_read2_b64 v[120:123], v95 offset0:136 offset1:244
	v_pk_fma_f32 v[130:131], v[6:7], v[126:127], v[80:81] op_sel:[0,0,1] op_sel_hi:[1,1,0]
	v_pk_fma_f32 v[80:81], v[6:7], v[126:127], v[80:81] op_sel:[0,0,1] op_sel_hi:[0,1,0] neg_lo:[0,0,1] neg_hi:[0,0,1]
	ds_read2_b64 v[126:129], v51 offset0:96 offset1:204
	v_pk_mul_f32 v[0:1], v[90:91], v[124:125] op_sel_hi:[0,1]
	v_pk_fma_f32 v[136:137], v[2:3], v[124:125], v[0:1] op_sel:[0,0,1] op_sel_hi:[1,1,0]
	v_pk_fma_f32 v[124:125], v[2:3], v[124:125], v[0:1] op_sel:[0,0,1] op_sel_hi:[0,1,0] neg_lo:[0,0,1] neg_hi:[0,0,1]
	s_waitcnt lgkmcnt(1)
	v_pk_mul_f32 v[0:1], v[12:13], v[122:123] op_sel:[1,0]
	v_mov_b32_e32 v133, v135
	v_pk_fma_f32 v[138:139], v[12:13], v[122:123], v[0:1] op_sel:[0,0,1] op_sel_hi:[1,1,0]
	v_pk_fma_f32 v[12:13], v[12:13], v[122:123], v[0:1] op_sel:[0,0,1] op_sel_hi:[0,1,0] neg_lo:[0,0,1] neg_hi:[0,0,1]
	s_waitcnt lgkmcnt(0)
	v_pk_mul_f32 v[0:1], v[92:93], v[128:129] op_sel_hi:[0,1]
	v_pk_fma_f32 v[122:123], v[14:15], v[128:129], v[0:1] op_sel:[0,0,1] op_sel_hi:[1,1,0]
	v_pk_fma_f32 v[14:15], v[14:15], v[128:129], v[0:1] op_sel:[0,0,1] op_sel_hi:[0,1,0] neg_lo:[0,0,1] neg_hi:[0,0,1]
	ds_read2_b64 v[0:3], v93 offset0:56 offset1:164
	v_pk_mul_f32 v[128:129], v[8:9], v[120:121] op_sel:[1,0]
	v_mov_b32_e32 v137, v125
	v_pk_fma_f32 v[140:141], v[8:9], v[120:121], v[128:129] op_sel:[0,0,1] op_sel_hi:[1,1,0]
	v_pk_fma_f32 v[8:9], v[8:9], v[120:121], v[128:129] op_sel:[0,0,1] op_sel_hi:[0,1,0] neg_lo:[0,0,1] neg_hi:[0,0,1]
	v_pk_mul_f32 v[120:121], v[88:89], v[126:127] op_sel_hi:[0,1]
	v_pk_fma_f32 v[128:129], v[10:11], v[126:127], v[120:121] op_sel:[0,0,1] op_sel_hi:[1,1,0]
	v_pk_fma_f32 v[10:11], v[10:11], v[126:127], v[120:121] op_sel:[0,0,1] op_sel_hi:[0,1,0] neg_lo:[0,0,1] neg_hi:[0,0,1]
	s_waitcnt lgkmcnt(0)
	v_pk_mul_f32 v[120:121], v[84:85], v[2:3] op_sel:[1,0]
	v_mov_b32_e32 v141, v9
	v_pk_fma_f32 v[126:127], v[84:85], v[2:3], v[120:121] op_sel:[0,0,1] op_sel_hi:[1,1,0]
	v_pk_fma_f32 v[84:85], v[84:85], v[2:3], v[120:121] op_sel:[0,0,1] op_sel_hi:[0,1,0] neg_lo:[0,0,1] neg_hi:[0,0,1]
	v_pk_mul_f32 v[2:3], v[82:83], v[0:1] op_sel:[1,0]
	v_mov_b32_e32 v129, v11
	v_pk_fma_f32 v[120:121], v[82:83], v[0:1], v[2:3] op_sel:[0,0,1] op_sel_hi:[1,1,0]
	v_pk_fma_f32 v[0:1], v[82:83], v[0:1], v[2:3] op_sel:[0,0,1] op_sel_hi:[0,1,0] neg_lo:[0,0,1] neg_hi:[0,0,1]
	v_mov_b32_e32 v121, v1
	ds_read2_b64 v[0:3], v50 offset1:108
	v_pk_add_f32 v[8:9], v[140:141], v[120:121]
	v_pk_add_f32 v[82:83], v[132:133], v[140:141]
	v_pk_add_f32 v[10:11], v[140:141], v[120:121] neg_lo:[0,1] neg_hi:[0,1]
	v_pk_add_f32 v[82:83], v[82:83], v[120:121]
	v_fmac_f32_e32 v135, -0.5, v9
	v_pk_add_f32 v[120:121], v[136:137], v[128:129]
	v_pk_add_f32 v[124:125], v[136:137], v[128:129] neg_lo:[0,1] neg_hi:[0,1]
	v_fmac_f32_e32 v132, -0.5, v8
	s_waitcnt lgkmcnt(0)
	v_pk_add_f32 v[8:9], v[0:1], v[136:137]
	v_pk_fma_f32 v[0:1], v[120:121], 0.5, v[0:1] op_sel_hi:[1,0,1] neg_lo:[1,0,0] neg_hi:[1,0,0]
	v_pk_mul_f32 v[120:121], v[124:125], s[8:9] op_sel_hi:[1,0]
	v_fmamk_f32 v4, v10, 0x3f5db3d7, v135
	v_pk_add_f32 v[124:125], v[0:1], v[120:121] op_sel:[0,1] op_sel_hi:[1,0] neg_lo:[0,1] neg_hi:[0,1]
	v_pk_add_f32 v[0:1], v[0:1], v[120:121] op_sel:[0,1] op_sel_hi:[1,0]
	v_pk_mul_f32 v[120:121], v[4:5], s[2:3] op_sel_hi:[0,1]
	v_fmamk_f32 v4, v11, 0xbf5db3d7, v132
	v_fmac_f32_e32 v135, 0xbf5db3d7, v10
	v_pk_add_f32 v[8:9], v[8:9], v[128:129]
	v_pk_fma_f32 v[128:129], v[4:5], s[6:7], v[120:121] neg_lo:[0,0,1] neg_hi:[0,0,1]
	v_pk_fma_f32 v[120:121], v[4:5], s[6:7], v[120:121] op_sel_hi:[0,1,1]
	v_mov_b32_e32 v4, v135
	v_fmac_f32_e32 v132, 0x3f5db3d7, v11
	v_pk_mul_f32 v[10:11], v[4:5], s[2:3] op_sel_hi:[0,1]
	v_mov_b32_e32 v129, v121
	v_mov_b32_e32 v121, v1
	v_pk_fma_f32 v[10:11], v[132:133], s[10:11], v[10:11] op_sel_hi:[0,1,1] neg_lo:[0,0,1] neg_hi:[0,0,1]
	v_mov_b32_e32 v1, v125
	v_mov_b32_e32 v120, v124
	v_pk_add_f32 v[136:137], v[8:9], v[82:83]
	v_pk_add_f32 v[8:9], v[8:9], v[82:83] neg_lo:[0,1] neg_hi:[0,1]
	v_pk_add_f32 v[82:83], v[0:1], v[10:11]
	s_barrier
	v_pk_add_f32 v[140:141], v[120:121], v[128:129]
	ds_write2_b64 v7, v[82:83], v[8:9] offset0:12 offset1:18
	v_pk_add_f32 v[8:9], v[120:121], v[128:129] neg_lo:[0,1] neg_hi:[0,1]
	v_pk_add_f32 v[0:1], v[0:1], v[10:11] neg_lo:[0,1] neg_hi:[0,1]
	v_mov_b32_e32 v139, v13
	v_mov_b32_e32 v127, v85
	ds_write2_b64 v7, v[136:137], v[140:141] offset1:6
	ds_write2_b64 v7, v[8:9], v[0:1] offset0:24 offset1:30
	v_mov_b32_e32 v131, v81
	v_mov_b32_e32 v123, v15
	v_mov_b32_e32 v87, v5
	v_pk_add_f32 v[6:7], v[138:139], v[126:127]
	v_pk_add_f32 v[0:1], v[130:131], v[122:123]
	v_pk_add_f32 v[8:9], v[138:139], v[126:127] neg_lo:[0,1] neg_hi:[0,1]
	v_pk_add_f32 v[10:11], v[86:87], v[138:139]
	v_fmac_f32_e32 v86, -0.5, v6
	v_fmac_f32_e32 v5, -0.5, v7
	v_pk_add_f32 v[6:7], v[130:131], v[122:123] neg_lo:[0,1] neg_hi:[0,1]
	v_pk_fma_f32 v[0:1], v[0:1], 0.5, v[2:3] op_sel_hi:[1,0,1] neg_lo:[1,0,0] neg_hi:[1,0,0]
	v_pk_mul_f32 v[6:7], v[6:7], s[8:9] op_sel_hi:[1,0]
	v_fmamk_f32 v4, v8, 0x3f5db3d7, v5
	v_pk_add_f32 v[12:13], v[0:1], v[6:7] op_sel:[0,1] op_sel_hi:[1,0] neg_lo:[0,1] neg_hi:[0,1]
	v_pk_add_f32 v[0:1], v[0:1], v[6:7] op_sel:[0,1] op_sel_hi:[1,0]
	v_pk_mul_f32 v[6:7], v[4:5], s[2:3] op_sel_hi:[0,1]
	v_fmamk_f32 v4, v9, 0xbf5db3d7, v86
	v_pk_fma_f32 v[14:15], v[4:5], s[6:7], v[6:7] neg_lo:[0,0,1] neg_hi:[0,0,1]
	v_pk_fma_f32 v[6:7], v[4:5], s[6:7], v[6:7] op_sel_hi:[0,1,1]
	v_fmac_f32_e32 v5, 0xbf5db3d7, v8
	v_mov_b32_e32 v4, v5
	v_pk_add_f32 v[2:3], v[2:3], v[130:131]
	v_fmac_f32_e32 v86, 0x3f5db3d7, v9
	v_pk_mul_f32 v[4:5], v[4:5], s[2:3] op_sel_hi:[0,1]
	v_pk_add_f32 v[10:11], v[10:11], v[126:127]
	v_pk_add_f32 v[2:3], v[2:3], v[122:123]
	v_mov_b32_e32 v15, v7
	v_mov_b32_e32 v7, v1
	v_pk_fma_f32 v[4:5], v[86:87], s[10:11], v[4:5] op_sel_hi:[0,1,1] neg_lo:[0,0,1] neg_hi:[0,0,1]
	v_mov_b32_e32 v1, v13
	v_mov_b32_e32 v6, v12
	v_pk_add_f32 v[80:81], v[2:3], v[10:11]
	v_pk_add_f32 v[2:3], v[2:3], v[10:11] neg_lo:[0,1] neg_hi:[0,1]
	v_pk_add_f32 v[8:9], v[0:1], v[4:5]
	v_pk_add_f32 v[82:83], v[6:7], v[14:15]
	ds_write2_b64 v55, v[8:9], v[2:3] offset0:12 offset1:18
	v_pk_add_f32 v[2:3], v[6:7], v[14:15] neg_lo:[0,1] neg_hi:[0,1]
	v_pk_add_f32 v[0:1], v[0:1], v[4:5] neg_lo:[0,1] neg_hi:[0,1]
	ds_write2_b64 v55, v[80:81], v[82:83] offset1:6
	ds_write2_b64 v55, v[2:3], v[0:1] offset0:24 offset1:30
	s_waitcnt lgkmcnt(0)
	s_barrier
	ds_read2_b64 v[0:3], v101 offset0:88 offset1:196
	ds_read2_b64 v[4:7], v91 offset0:48 offset1:156
	s_waitcnt lgkmcnt(1)
	v_pk_mul_f32 v[8:9], v[20:21], v[2:3] op_sel:[1,0]
	s_nop 0
	v_pk_fma_f32 v[10:11], v[20:21], v[2:3], v[8:9] op_sel:[0,0,1] op_sel_hi:[0,1,0]
	v_pk_fma_f32 v[12:13], v[20:21], v[2:3], v[8:9] op_sel:[0,0,1] op_sel_hi:[0,1,0] neg_lo:[0,0,1] neg_hi:[0,0,1]
	s_waitcnt lgkmcnt(0)
	v_pk_mul_f32 v[2:3], v[110:111], v[6:7] op_sel_hi:[0,1]
	v_pk_fma_f32 v[14:15], v[22:23], v[6:7], v[2:3] op_sel:[0,0,1] op_sel_hi:[1,1,0]
	v_pk_fma_f32 v[20:21], v[22:23], v[6:7], v[2:3] op_sel:[0,0,1] op_sel_hi:[0,1,0] neg_lo:[0,0,1] neg_hi:[0,0,1]
	v_pk_mul_f32 v[2:3], v[16:17], v[0:1] op_sel:[1,0]
	ds_read2_b64 v[6:9], v51 offset0:96 offset1:204
	v_pk_fma_f32 v[80:81], v[16:17], v[0:1], v[2:3] op_sel:[0,0,1] op_sel_hi:[0,1,0]
	v_pk_fma_f32 v[16:17], v[16:17], v[0:1], v[2:3] op_sel:[0,0,1] op_sel_hi:[0,1,0] neg_lo:[0,0,1] neg_hi:[0,0,1]
	ds_read2_b64 v[0:3], v95 offset0:136 offset1:244
	v_pk_mul_f32 v[82:83], v[102:103], v[4:5] op_sel_hi:[0,1]
	v_pk_fma_f32 v[84:85], v[18:19], v[4:5], v[82:83] op_sel:[0,0,1] op_sel_hi:[1,1,0]
	v_pk_fma_f32 v[18:19], v[18:19], v[4:5], v[82:83] op_sel:[0,0,1] op_sel_hi:[0,1,0] neg_lo:[0,0,1] neg_hi:[0,0,1]
	v_mov_b32_e32 v85, v19
	s_waitcnt lgkmcnt(0)
	v_pk_mul_f32 v[4:5], v[28:29], v[2:3] op_sel:[1,0]
	v_mov_b32_e32 v81, v17
	v_pk_fma_f32 v[82:83], v[28:29], v[2:3], v[4:5] op_sel:[0,0,1] op_sel_hi:[1,1,0]
	v_pk_fma_f32 v[28:29], v[28:29], v[2:3], v[4:5] op_sel:[0,0,1] op_sel_hi:[0,1,0] neg_lo:[0,0,1] neg_hi:[0,0,1]
	v_pk_mul_f32 v[2:3], v[104:105], v[8:9] op_sel_hi:[0,1]
	v_pk_fma_f32 v[86:87], v[30:31], v[8:9], v[2:3] op_sel:[0,0,1] op_sel_hi:[1,1,0]
	v_pk_fma_f32 v[8:9], v[30:31], v[8:9], v[2:3] op_sel:[0,0,1] op_sel_hi:[0,1,0] neg_lo:[0,0,1] neg_hi:[0,0,1]
	ds_read2_b64 v[2:5], v93 offset0:56 offset1:164
	v_pk_mul_f32 v[30:31], v[24:25], v[0:1] op_sel:[1,0]
	v_mov_b32_e32 v83, v29
	v_pk_fma_f32 v[102:103], v[24:25], v[0:1], v[30:31] op_sel:[0,0,1] op_sel_hi:[1,1,0]
	v_pk_fma_f32 v[0:1], v[24:25], v[0:1], v[30:31] op_sel:[0,0,1] op_sel_hi:[0,1,0] neg_lo:[0,0,1] neg_hi:[0,0,1]
	v_pk_mul_f32 v[24:25], v[100:101], v[6:7] op_sel_hi:[0,1]
	v_pk_fma_f32 v[30:31], v[26:27], v[6:7], v[24:25] op_sel:[0,0,1] op_sel_hi:[1,1,0]
	v_pk_fma_f32 v[6:7], v[26:27], v[6:7], v[24:25] op_sel:[0,0,1] op_sel_hi:[0,1,0] neg_lo:[0,0,1] neg_hi:[0,0,1]
	s_waitcnt lgkmcnt(0)
	v_pk_mul_f32 v[24:25], v[98:99], v[4:5] op_sel:[1,0]
	v_mov_b32_e32 v103, v1
	v_pk_fma_f32 v[26:27], v[98:99], v[4:5], v[24:25] op_sel:[0,0,1] op_sel_hi:[1,1,0]
	v_pk_fma_f32 v[4:5], v[98:99], v[4:5], v[24:25] op_sel:[0,0,1] op_sel_hi:[0,1,0] neg_lo:[0,0,1] neg_hi:[0,0,1]
	v_pk_mul_f32 v[24:25], v[96:97], v[2:3] op_sel:[1,0]
	v_mov_b32_e32 v31, v7
	v_pk_fma_f32 v[98:99], v[96:97], v[2:3], v[24:25] op_sel:[0,0,1] op_sel_hi:[1,1,0]
	v_pk_fma_f32 v[2:3], v[96:97], v[2:3], v[24:25] op_sel:[0,0,1] op_sel_hi:[0,1,0] neg_lo:[0,0,1] neg_hi:[0,0,1]
	v_mov_b32_e32 v99, v3
	ds_read2_b64 v[0:3], v50 offset1:108
	v_pk_add_f32 v[6:7], v[102:103], v[98:99]
	v_pk_add_f32 v[24:25], v[80:81], v[102:103]
	v_fmac_f32_e32 v80, -0.5, v6
	v_fmac_f32_e32 v17, -0.5, v7
	s_waitcnt lgkmcnt(0)
	v_pk_add_f32 v[6:7], v[0:1], v[84:85]
	v_pk_add_f32 v[18:19], v[102:103], v[98:99] neg_lo:[0,1] neg_hi:[0,1]
	v_pk_add_f32 v[6:7], v[6:7], v[30:31]
	v_pk_add_f32 v[96:97], v[84:85], v[30:31]
	v_pk_add_f32 v[30:31], v[84:85], v[30:31] neg_lo:[0,1] neg_hi:[0,1]
	v_pk_fma_f32 v[0:1], v[96:97], 0.5, v[0:1] op_sel_hi:[1,0,1] neg_lo:[1,0,0] neg_hi:[1,0,0]
	v_pk_mul_f32 v[30:31], v[30:31], s[8:9] op_sel_hi:[1,0]
	v_fmamk_f32 v4, v18, 0x3f5db3d7, v17
	v_pk_add_f32 v[84:85], v[0:1], v[30:31] op_sel:[0,1] op_sel_hi:[1,0] neg_lo:[0,1] neg_hi:[0,1]
	v_pk_add_f32 v[0:1], v[0:1], v[30:31] op_sel:[0,1] op_sel_hi:[1,0]
	v_pk_mul_f32 v[30:31], v[4:5], s[2:3] op_sel_hi:[0,1]
	v_fmamk_f32 v4, v19, 0xbf5db3d7, v80
	v_fmac_f32_e32 v17, 0xbf5db3d7, v18
	v_pk_fma_f32 v[96:97], v[4:5], s[6:7], v[30:31] neg_lo:[0,0,1] neg_hi:[0,0,1]
	v_pk_fma_f32 v[30:31], v[4:5], s[6:7], v[30:31] op_sel_hi:[0,1,1]
	v_mov_b32_e32 v4, v17
	v_fmac_f32_e32 v80, 0x3f5db3d7, v19
	v_pk_mul_f32 v[16:17], v[4:5], s[2:3] op_sel_hi:[0,1]
	v_pk_add_f32 v[24:25], v[24:25], v[98:99]
	v_mov_b32_e32 v97, v31
	v_mov_b32_e32 v31, v1
	v_pk_fma_f32 v[16:17], v[80:81], s[10:11], v[16:17] op_sel_hi:[0,1,1] neg_lo:[0,0,1] neg_hi:[0,0,1]
	v_mov_b32_e32 v1, v85
	v_mov_b32_e32 v30, v84
	v_pk_add_f32 v[98:99], v[6:7], v[24:25]
	v_pk_add_f32 v[6:7], v[6:7], v[24:25] neg_lo:[0,1] neg_hi:[0,1]
	v_pk_add_f32 v[18:19], v[0:1], v[16:17]
	v_mov_b32_e32 v27, v5
	s_barrier
	ds_write2_b64 v23, v[18:19], v[6:7] offset0:72 offset1:108
	v_pk_add_f32 v[6:7], v[30:31], v[96:97] neg_lo:[0,1] neg_hi:[0,1]
	v_pk_add_f32 v[0:1], v[0:1], v[16:17] neg_lo:[0,1] neg_hi:[0,1]
	v_mov_b32_e32 v15, v21
	v_mov_b32_e32 v87, v9
	;; [unrolled: 1-line block ×3, first 2 shown]
	v_pk_add_f32 v[4:5], v[82:83], v[26:27]
	ds_write2_b64 v23, v[6:7], v[0:1] offset0:144 offset1:180
	v_pk_add_f32 v[0:1], v[14:15], v[86:87]
	v_pk_add_f32 v[8:9], v[10:11], v[82:83]
	v_fmac_f32_e32 v10, -0.5, v4
	v_fmac_f32_e32 v13, -0.5, v5
	v_pk_add_f32 v[4:5], v[14:15], v[86:87] neg_lo:[0,1] neg_hi:[0,1]
	v_pk_fma_f32 v[0:1], v[0:1], 0.5, v[2:3] op_sel_hi:[1,0,1] neg_lo:[1,0,0] neg_hi:[1,0,0]
	v_pk_add_f32 v[6:7], v[82:83], v[26:27] neg_lo:[0,1] neg_hi:[0,1]
	v_pk_mul_f32 v[4:5], v[4:5], s[8:9] op_sel_hi:[1,0]
	v_pk_add_f32 v[2:3], v[2:3], v[14:15]
	v_pk_add_f32 v[14:15], v[0:1], v[4:5] op_sel:[0,1] op_sel_hi:[1,0] neg_lo:[0,1] neg_hi:[0,1]
	v_pk_add_f32 v[0:1], v[0:1], v[4:5] op_sel:[0,1] op_sel_hi:[1,0]
	v_fmamk_f32 v4, v6, 0x3f5db3d7, v13
	v_pk_mul_f32 v[4:5], v[4:5], s[2:3] op_sel_hi:[0,1]
	v_fmamk_f32 v12, v7, 0xbf5db3d7, v10
	v_pk_fma_f32 v[16:17], v[12:13], s[6:7], v[4:5] neg_lo:[0,0,1] neg_hi:[0,0,1]
	v_pk_fma_f32 v[4:5], v[12:13], s[6:7], v[4:5] op_sel_hi:[0,1,1]
	v_fmac_f32_e32 v13, 0xbf5db3d7, v6
	v_mov_b32_e32 v6, v13
	v_fmac_f32_e32 v10, 0x3f5db3d7, v7
	v_pk_mul_f32 v[6:7], v[6:7], s[2:3] op_sel_hi:[0,1]
	v_pk_add_f32 v[8:9], v[8:9], v[26:27]
	v_pk_add_f32 v[2:3], v[2:3], v[86:87]
	v_mov_b32_e32 v17, v5
	v_mov_b32_e32 v5, v1
	v_pk_fma_f32 v[6:7], v[10:11], s[10:11], v[6:7] op_sel_hi:[0,1,1] neg_lo:[0,0,1] neg_hi:[0,0,1]
	v_mov_b32_e32 v1, v15
	v_pk_add_f32 v[102:103], v[30:31], v[96:97]
	v_mov_b32_e32 v4, v14
	v_pk_add_f32 v[18:19], v[2:3], v[8:9]
	v_pk_add_f32 v[2:3], v[2:3], v[8:9] neg_lo:[0,1] neg_hi:[0,1]
	v_pk_add_f32 v[8:9], v[0:1], v[6:7]
	ds_write2_b64 v23, v[98:99], v[102:103] offset1:36
	v_pk_add_f32 v[20:21], v[4:5], v[16:17]
	ds_write2_b64 v105, v[8:9], v[2:3] offset0:72 offset1:108
	v_pk_add_f32 v[2:3], v[4:5], v[16:17] neg_lo:[0,1] neg_hi:[0,1]
	v_pk_add_f32 v[0:1], v[0:1], v[6:7] neg_lo:[0,1] neg_hi:[0,1]
	ds_write2_b64 v105, v[18:19], v[20:21] offset1:36
	ds_write2_b64 v105, v[2:3], v[0:1] offset0:144 offset1:180
	s_waitcnt lgkmcnt(0)
	s_barrier
	ds_read2_b64 v[0:3], v101 offset0:88 offset1:196
	ds_read2_b64 v[4:7], v91 offset0:48 offset1:156
	s_waitcnt lgkmcnt(1)
	v_pk_mul_f32 v[8:9], v[36:37], v[0:1] op_sel:[1,0]
	s_nop 0
	v_pk_fma_f32 v[12:13], v[36:37], v[0:1], v[8:9] op_sel:[0,0,1] op_sel_hi:[0,1,0]
	v_pk_fma_f32 v[14:15], v[36:37], v[0:1], v[8:9] op_sel:[0,0,1] op_sel_hi:[0,1,0] neg_lo:[0,0,1] neg_hi:[0,0,1]
	s_waitcnt lgkmcnt(0)
	v_pk_mul_f32 v[0:1], v[118:119], v[4:5] op_sel_hi:[0,1]
	v_pk_fma_f32 v[16:17], v[38:39], v[4:5], v[0:1] op_sel:[0,0,1] op_sel_hi:[1,1,0]
	v_pk_fma_f32 v[18:19], v[38:39], v[4:5], v[0:1] op_sel:[0,0,1] op_sel_hi:[0,1,0] neg_lo:[0,0,1] neg_hi:[0,0,1]
	v_pk_mul_f32 v[0:1], v[32:33], v[2:3] op_sel:[1,0]
	ds_read2_b64 v[8:11], v51 offset0:96 offset1:204
	v_pk_fma_f32 v[20:21], v[32:33], v[2:3], v[0:1] op_sel:[0,0,1] op_sel_hi:[0,1,0]
	v_pk_fma_f32 v[22:23], v[32:33], v[2:3], v[0:1] op_sel:[0,0,1] op_sel_hi:[0,1,0] neg_lo:[0,0,1] neg_hi:[0,0,1]
	ds_read2_b64 v[0:3], v95 offset0:136 offset1:244
	v_pk_mul_f32 v[4:5], v[114:115], v[6:7] op_sel_hi:[0,1]
	v_pk_fma_f32 v[24:25], v[34:35], v[6:7], v[4:5] op_sel:[0,0,1] op_sel_hi:[1,1,0]
	v_pk_fma_f32 v[26:27], v[34:35], v[6:7], v[4:5] op_sel:[0,0,1] op_sel_hi:[0,1,0] neg_lo:[0,0,1] neg_hi:[0,0,1]
	v_mov_b32_e32 v13, v15
	s_waitcnt lgkmcnt(0)
	v_pk_mul_f32 v[4:5], v[44:45], v[0:1] op_sel:[1,0]
	v_pk_mul_f32 v[32:33], v[40:41], v[2:3] op_sel:[1,0]
	v_pk_fma_f32 v[28:29], v[44:45], v[0:1], v[4:5] op_sel:[0,0,1] op_sel_hi:[1,1,0]
	v_pk_fma_f32 v[0:1], v[44:45], v[0:1], v[4:5] op_sel:[0,0,1] op_sel_hi:[0,1,0] neg_lo:[0,0,1] neg_hi:[0,0,1]
	v_pk_mul_f32 v[4:5], v[116:117], v[8:9] op_sel_hi:[0,1]
	v_pk_fma_f32 v[30:31], v[46:47], v[8:9], v[4:5] op_sel:[0,0,1] op_sel_hi:[1,1,0]
	v_pk_fma_f32 v[8:9], v[46:47], v[8:9], v[4:5] op_sel:[0,0,1] op_sel_hi:[0,1,0] neg_lo:[0,0,1] neg_hi:[0,0,1]
	ds_read2_b64 v[4:7], v93 offset0:56 offset1:164
	v_pk_fma_f32 v[34:35], v[40:41], v[2:3], v[32:33] op_sel:[0,0,1] op_sel_hi:[1,1,0]
	v_pk_fma_f32 v[32:33], v[40:41], v[2:3], v[32:33] op_sel:[0,0,1] op_sel_hi:[0,1,0] neg_lo:[0,0,1] neg_hi:[0,0,1]
	v_pk_mul_f32 v[2:3], v[112:113], v[10:11] op_sel_hi:[0,1]
	v_pk_fma_f32 v[36:37], v[42:43], v[10:11], v[2:3] op_sel:[0,0,1] op_sel_hi:[1,1,0]
	v_pk_fma_f32 v[10:11], v[42:43], v[10:11], v[2:3] op_sel:[0,0,1] op_sel_hi:[0,1,0] neg_lo:[0,0,1] neg_hi:[0,0,1]
	s_waitcnt lgkmcnt(0)
	v_pk_mul_f32 v[2:3], v[108:109], v[4:5] op_sel:[1,0]
	v_mov_b32_e32 v29, v1
	v_pk_fma_f32 v[38:39], v[108:109], v[4:5], v[2:3] op_sel:[0,0,1] op_sel_hi:[1,1,0]
	v_pk_fma_f32 v[2:3], v[108:109], v[4:5], v[2:3] op_sel:[0,0,1] op_sel_hi:[0,1,0] neg_lo:[0,0,1] neg_hi:[0,0,1]
	v_mov_b32_e32 v39, v3
	v_pk_mul_f32 v[4:5], v[106:107], v[6:7] op_sel:[1,0]
	v_pk_add_f32 v[0:1], v[28:29], v[38:39]
	v_pk_fma_f32 v[40:41], v[106:107], v[6:7], v[4:5] op_sel:[0,0,1] op_sel_hi:[1,1,0]
	v_pk_fma_f32 v[4:5], v[106:107], v[6:7], v[4:5] op_sel:[0,0,1] op_sel_hi:[0,1,0] neg_lo:[0,0,1] neg_hi:[0,0,1]
	v_pk_add_f32 v[2:3], v[28:29], v[38:39] neg_lo:[0,1] neg_hi:[0,1]
	v_pk_add_f32 v[6:7], v[12:13], v[28:29]
	v_fmac_f32_e32 v12, -0.5, v0
	v_fmac_f32_e32 v15, -0.5, v1
	v_fmamk_f32 v4, v3, 0xbf5db3d7, v12
	v_fmac_f32_e32 v12, 0x3f5db3d7, v3
	v_fmamk_f32 v8, v2, 0x3f5db3d7, v15
	v_fmac_f32_e32 v15, 0xbf5db3d7, v2
	ds_read2_b64 v[0:3], v50 offset1:108
	v_mov_b32_e32 v17, v19
	v_mov_b32_e32 v31, v9
	;; [unrolled: 1-line block ×3, first 2 shown]
	v_pk_add_f32 v[18:19], v[16:17], v[30:31]
	s_waitcnt lgkmcnt(0)
	v_pk_add_f32 v[10:11], v[0:1], v[16:17]
	v_pk_add_f32 v[16:17], v[16:17], v[30:31] neg_lo:[0,1] neg_hi:[0,1]
	v_pk_fma_f32 v[0:1], v[18:19], 0.5, v[0:1] op_sel_hi:[1,0,1] neg_lo:[1,0,0] neg_hi:[1,0,0]
	v_pk_mul_f32 v[16:17], v[16:17], s[8:9] op_sel_hi:[1,0]
	v_pk_mul_f32 v[8:9], v[8:9], s[2:3] op_sel_hi:[0,1]
	v_mov_b32_e32 v41, v5
	v_pk_add_f32 v[18:19], v[0:1], v[16:17] op_sel:[0,1] op_sel_hi:[1,0] neg_lo:[0,1] neg_hi:[0,1]
	v_pk_add_f32 v[0:1], v[0:1], v[16:17] op_sel:[0,1] op_sel_hi:[1,0]
	v_pk_fma_f32 v[16:17], v[4:5], s[6:7], v[8:9] neg_lo:[0,0,1] neg_hi:[0,0,1]
	v_pk_fma_f32 v[4:5], v[4:5], s[6:7], v[8:9] op_sel_hi:[0,1,1]
	v_mov_b32_e32 v17, v5
	v_mov_b32_e32 v4, v18
	;; [unrolled: 1-line block ×3, first 2 shown]
	v_pk_add_f32 v[8:9], v[4:5], v[16:17]
	ds_write_b64 v50, v[8:9] offset:1728
	v_mov_b32_e32 v8, v15
	v_pk_mul_f32 v[8:9], v[8:9], s[2:3] op_sel_hi:[0,1]
	v_pk_fma_f32 v[8:9], v[12:13], s[10:11], v[8:9] op_sel_hi:[0,1,1] neg_lo:[0,0,1] neg_hi:[0,0,1]
	v_mov_b32_e32 v1, v19
	v_mov_b32_e32 v25, v27
	;; [unrolled: 1-line block ×3, first 2 shown]
	v_pk_add_f32 v[12:13], v[0:1], v[8:9]
	v_pk_add_f32 v[4:5], v[4:5], v[16:17] neg_lo:[0,1] neg_hi:[0,1]
	v_pk_add_f32 v[0:1], v[0:1], v[8:9] neg_lo:[0,1] neg_hi:[0,1]
	v_mov_b32_e32 v21, v23
	v_pk_add_f32 v[6:7], v[6:7], v[38:39]
	v_pk_add_f32 v[10:11], v[10:11], v[30:31]
	ds_write_b64 v50, v[4:5] offset:6912
	ds_write_b64 v50, v[0:1] offset:8640
	v_pk_add_f32 v[0:1], v[2:3], v[24:25]
	v_pk_add_f32 v[4:5], v[20:21], v[34:35]
	ds_write_b64 v50, v[12:13] offset:3456
	v_pk_add_f32 v[12:13], v[10:11], v[6:7]
	v_pk_add_f32 v[6:7], v[10:11], v[6:7] neg_lo:[0,1] neg_hi:[0,1]
	v_pk_add_f32 v[0:1], v[0:1], v[36:37]
	v_pk_add_f32 v[4:5], v[4:5], v[40:41]
	ds_write_b64 v50, v[6:7] offset:5184
	v_pk_add_f32 v[6:7], v[0:1], v[4:5]
	ds_write2_b64 v50, v[12:13], v[6:7] offset1:108
	v_pk_add_f32 v[6:7], v[24:25], v[36:37]
	v_pk_add_f32 v[8:9], v[34:35], v[40:41] neg_lo:[0,1] neg_hi:[0,1]
	v_pk_fma_f32 v[2:3], v[6:7], 0.5, v[2:3] op_sel_hi:[1,0,1] neg_lo:[1,0,0] neg_hi:[1,0,0]
	v_pk_add_f32 v[6:7], v[34:35], v[40:41]
	v_pk_add_f32 v[0:1], v[0:1], v[4:5] neg_lo:[0,1] neg_hi:[0,1]
	v_fmac_f32_e32 v20, -0.5, v6
	v_fmac_f32_e32 v23, -0.5, v7
	v_fmamk_f32 v6, v9, 0xbf5db3d7, v20
	v_fmac_f32_e32 v20, 0x3f5db3d7, v9
	v_fmamk_f32 v10, v8, 0x3f5db3d7, v23
	v_fmac_f32_e32 v23, 0xbf5db3d7, v8
	v_pk_add_f32 v[8:9], v[24:25], v[36:37] neg_lo:[0,1] neg_hi:[0,1]
	v_pk_mul_f32 v[10:11], v[10:11], s[2:3] op_sel_hi:[0,1]
	v_pk_mul_f32 v[8:9], v[8:9], s[8:9] op_sel_hi:[1,0]
	v_pk_fma_f32 v[14:15], v[6:7], s[6:7], v[10:11] neg_lo:[0,0,1] neg_hi:[0,0,1]
	v_pk_add_f32 v[12:13], v[2:3], v[8:9] op_sel:[0,1] op_sel_hi:[1,0] neg_lo:[0,1] neg_hi:[0,1]
	v_pk_add_f32 v[2:3], v[2:3], v[8:9] op_sel:[0,1] op_sel_hi:[1,0]
	v_pk_fma_f32 v[6:7], v[6:7], s[6:7], v[10:11] op_sel_hi:[0,1,1]
	v_mov_b32_e32 v8, v12
	v_mov_b32_e32 v9, v3
	;; [unrolled: 1-line block ×3, first 2 shown]
	v_pk_add_f32 v[6:7], v[8:9], v[14:15]
	ds_write_b64 v50, v[6:7] offset:2592
	v_mov_b32_e32 v6, v23
	v_pk_mul_f32 v[6:7], v[6:7], s[2:3] op_sel_hi:[0,1]
	v_pk_fma_f32 v[6:7], v[20:21], s[10:11], v[6:7] op_sel_hi:[0,1,1] neg_lo:[0,0,1] neg_hi:[0,0,1]
	v_mov_b32_e32 v3, v13
	ds_write_b64 v50, v[0:1] offset:6048
	v_pk_add_f32 v[0:1], v[8:9], v[14:15] neg_lo:[0,1] neg_hi:[0,1]
	v_pk_add_f32 v[10:11], v[2:3], v[6:7]
	ds_write_b64 v50, v[0:1] offset:7776
	v_pk_add_f32 v[0:1], v[2:3], v[6:7] neg_lo:[0,1] neg_hi:[0,1]
	ds_write_b64 v50, v[10:11] offset:4320
	ds_write_b64 v50, v[0:1] offset:9504
	s_waitcnt lgkmcnt(0)
	s_barrier
	ds_read2_b64 v[0:3], v50 offset1:108
	v_mov_b32_e32 v8, s0
	v_mov_b32_e32 v9, s1
	s_mov_b32 s0, 0xfcd6e9e0
	s_mov_b32 s1, 0x3f4948b0
	s_waitcnt lgkmcnt(0)
	v_mul_f32_e32 v4, v63, v1
	v_fmac_f32_e32 v4, v62, v0
	v_mul_f32_e32 v0, v63, v0
	v_fma_f32 v0, v62, v1, -v0
	v_cvt_f64_f32_e32 v[0:1], v0
	v_cvt_f64_f32_e32 v[4:5], v4
	v_mul_f64 v[0:1], v[0:1], s[0:1]
	v_mul_f64 v[4:5], v[4:5], s[0:1]
	v_cvt_f32_f64_e32 v11, v[0:1]
	v_mad_u64_u32 v[0:1], s[2:3], s4, v54, 0
	v_cvt_f32_f64_e32 v10, v[4:5]
	v_mov_b32_e32 v4, v1
	v_mad_u64_u32 v[12:13], s[2:3], s5, v54, v[4:5]
	ds_read2_b64 v[4:7], v101 offset0:88 offset1:196
	v_mov_b32_e32 v1, v12
	v_lshl_add_u64 v[8:9], v[48:49], 3, v[8:9]
	v_lshl_add_u64 v[0:1], v[0:1], 3, v[8:9]
	global_store_dwordx2 v[0:1], v[10:11], off
	s_waitcnt lgkmcnt(0)
	v_mul_f32_e32 v8, v57, v5
	v_fmac_f32_e32 v8, v56, v4
	v_cvt_f64_f32_e32 v[8:9], v8
	v_mul_f64 v[8:9], v[8:9], s[0:1]
	v_cvt_f32_f64_e32 v12, v[8:9]
	ds_read2_b64 v[8:11], v91 offset0:48 offset1:156
	v_mul_f32_e32 v4, v57, v4
	v_fma_f32 v4, v56, v5, -v4
	v_cvt_f64_f32_e32 v[4:5], v4
	v_mul_f64 v[4:5], v[4:5], s[0:1]
	v_cvt_f32_f64_e32 v13, v[4:5]
	s_waitcnt lgkmcnt(0)
	v_mul_f32_e32 v4, v53, v9
	v_fmac_f32_e32 v4, v52, v8
	v_mad_u64_u32 v[0:1], s[2:3], s4, v59, v[0:1]
	s_mul_i32 s6, s5, 0x6c0
	v_cvt_f64_f32_e32 v[4:5], v4
	v_add_u32_e32 v1, s6, v1
	v_mul_f64 v[4:5], v[4:5], s[0:1]
	global_store_dwordx2 v[0:1], v[12:13], off
	v_cvt_f32_f64_e32 v4, v[4:5]
	v_mul_f32_e32 v5, v53, v8
	ds_read2_b64 v[12:15], v95 offset0:136 offset1:244
	v_fma_f32 v5, v52, v9, -v5
	v_cvt_f64_f32_e32 v[8:9], v5
	v_mul_f64 v[8:9], v[8:9], s[0:1]
	v_mad_u64_u32 v[0:1], s[2:3], s4, v59, v[0:1]
	v_cvt_f32_f64_e32 v5, v[8:9]
	v_add_u32_e32 v1, s6, v1
	global_store_dwordx2 v[0:1], v[4:5], off
	s_waitcnt lgkmcnt(0)
	v_mul_f32_e32 v4, v79, v13
	v_fmac_f32_e32 v4, v78, v12
	v_cvt_f64_f32_e32 v[4:5], v4
	v_mul_f64 v[4:5], v[4:5], s[0:1]
	v_cvt_f32_f64_e32 v4, v[4:5]
	v_mul_f32_e32 v5, v79, v12
	ds_read2_b64 v[16:19], v51 offset0:96 offset1:204
	v_fma_f32 v5, v78, v13, -v5
	v_cvt_f64_f32_e32 v[8:9], v5
	v_mul_f64 v[8:9], v[8:9], s[0:1]
	v_mad_u64_u32 v[0:1], s[2:3], s4, v59, v[0:1]
	v_cvt_f32_f64_e32 v5, v[8:9]
	v_add_u32_e32 v1, s6, v1
	global_store_dwordx2 v[0:1], v[4:5], off
	s_waitcnt lgkmcnt(0)
	v_mul_f32_e32 v4, v77, v17
	v_fmac_f32_e32 v4, v76, v16
	v_cvt_f64_f32_e32 v[4:5], v4
	v_mul_f64 v[4:5], v[4:5], s[0:1]
	;; [unrolled: 15-line block ×3, first 2 shown]
	v_cvt_f32_f64_e32 v4, v[4:5]
	v_mul_f32_e32 v5, v75, v20
	v_fma_f32 v5, v74, v21, -v5
	v_cvt_f64_f32_e32 v[8:9], v5
	v_mul_f64 v[8:9], v[8:9], s[0:1]
	v_mad_u64_u32 v[0:1], s[2:3], s4, v59, v[0:1]
	v_cvt_f32_f64_e32 v5, v[8:9]
	v_add_u32_e32 v1, s6, v1
	global_store_dwordx2 v[0:1], v[4:5], off
	v_mul_f32_e32 v4, v73, v3
	v_fmac_f32_e32 v4, v72, v2
	v_mul_f32_e32 v2, v73, v2
	v_fma_f32 v2, v72, v3, -v2
	v_cvt_f64_f32_e32 v[4:5], v4
	v_cvt_f64_f32_e32 v[2:3], v2
	v_mul_f64 v[4:5], v[4:5], s[0:1]
	v_mul_f64 v[2:3], v[2:3], s[0:1]
	v_cvt_f32_f64_e32 v4, v[4:5]
	v_cvt_f32_f64_e32 v5, v[2:3]
	v_mul_f32_e32 v2, v69, v7
	v_fmac_f32_e32 v2, v68, v6
	v_mad_u64_u32 v[0:1], s[2:3], s4, v89, v[0:1]
	v_cvt_f64_f32_e32 v[2:3], v2
	s_mul_i32 s2, s5, 0xffffe1a0
	v_mul_f64 v[2:3], v[2:3], s[0:1]
	s_sub_i32 s2, s2, s4
	v_cvt_f32_f64_e32 v2, v[2:3]
	v_mul_f32_e32 v3, v69, v6
	v_add_u32_e32 v1, s2, v1
	v_fma_f32 v3, v68, v7, -v3
	global_store_dwordx2 v[0:1], v[4:5], off
	v_cvt_f64_f32_e32 v[4:5], v3
	v_mul_f64 v[4:5], v[4:5], s[0:1]
	v_mad_u64_u32 v[0:1], s[2:3], s4, v59, v[0:1]
	v_cvt_f32_f64_e32 v3, v[4:5]
	v_add_u32_e32 v1, s6, v1
	global_store_dwordx2 v[0:1], v[2:3], off
	v_mul_f32_e32 v2, v67, v11
	v_fmac_f32_e32 v2, v66, v10
	v_cvt_f64_f32_e32 v[2:3], v2
	v_mul_f64 v[2:3], v[2:3], s[0:1]
	v_cvt_f32_f64_e32 v2, v[2:3]
	v_mul_f32_e32 v3, v67, v10
	v_fma_f32 v3, v66, v11, -v3
	v_cvt_f64_f32_e32 v[4:5], v3
	v_mul_f64 v[4:5], v[4:5], s[0:1]
	v_mad_u64_u32 v[0:1], s[2:3], s4, v59, v[0:1]
	v_cvt_f32_f64_e32 v3, v[4:5]
	v_add_u32_e32 v1, s6, v1
	global_store_dwordx2 v[0:1], v[2:3], off
	v_mul_f32_e32 v2, v61, v15
	v_fmac_f32_e32 v2, v60, v14
	v_cvt_f64_f32_e32 v[2:3], v2
	v_mul_f64 v[2:3], v[2:3], s[0:1]
	v_cvt_f32_f64_e32 v2, v[2:3]
	v_mul_f32_e32 v3, v61, v14
	v_fma_f32 v3, v60, v15, -v3
	;; [unrolled: 13-line block ×4, first 2 shown]
	v_cvt_f64_f32_e32 v[4:5], v3
	v_mul_f64 v[4:5], v[4:5], s[0:1]
	v_mad_u64_u32 v[0:1], s[0:1], s4, v59, v[0:1]
	v_cvt_f32_f64_e32 v3, v[4:5]
	v_add_u32_e32 v1, s6, v1
	global_store_dwordx2 v[0:1], v[2:3], off
.LBB0_2:
	s_endpgm
	.section	.rodata,"a",@progbits
	.p2align	6, 0x0
	.amdhsa_kernel bluestein_single_back_len1296_dim1_sp_op_CI_CI
		.amdhsa_group_segment_fixed_size 10368
		.amdhsa_private_segment_fixed_size 0
		.amdhsa_kernarg_size 104
		.amdhsa_user_sgpr_count 2
		.amdhsa_user_sgpr_dispatch_ptr 0
		.amdhsa_user_sgpr_queue_ptr 0
		.amdhsa_user_sgpr_kernarg_segment_ptr 1
		.amdhsa_user_sgpr_dispatch_id 0
		.amdhsa_user_sgpr_kernarg_preload_length 0
		.amdhsa_user_sgpr_kernarg_preload_offset 0
		.amdhsa_user_sgpr_private_segment_size 0
		.amdhsa_uses_dynamic_stack 0
		.amdhsa_enable_private_segment 0
		.amdhsa_system_sgpr_workgroup_id_x 1
		.amdhsa_system_sgpr_workgroup_id_y 0
		.amdhsa_system_sgpr_workgroup_id_z 0
		.amdhsa_system_sgpr_workgroup_info 0
		.amdhsa_system_vgpr_workitem_id 0
		.amdhsa_next_free_vgpr 156
		.amdhsa_next_free_sgpr 20
		.amdhsa_accum_offset 156
		.amdhsa_reserve_vcc 1
		.amdhsa_float_round_mode_32 0
		.amdhsa_float_round_mode_16_64 0
		.amdhsa_float_denorm_mode_32 3
		.amdhsa_float_denorm_mode_16_64 3
		.amdhsa_dx10_clamp 1
		.amdhsa_ieee_mode 1
		.amdhsa_fp16_overflow 0
		.amdhsa_tg_split 0
		.amdhsa_exception_fp_ieee_invalid_op 0
		.amdhsa_exception_fp_denorm_src 0
		.amdhsa_exception_fp_ieee_div_zero 0
		.amdhsa_exception_fp_ieee_overflow 0
		.amdhsa_exception_fp_ieee_underflow 0
		.amdhsa_exception_fp_ieee_inexact 0
		.amdhsa_exception_int_div_zero 0
	.end_amdhsa_kernel
	.text
.Lfunc_end0:
	.size	bluestein_single_back_len1296_dim1_sp_op_CI_CI, .Lfunc_end0-bluestein_single_back_len1296_dim1_sp_op_CI_CI
                                        ; -- End function
	.section	.AMDGPU.csdata,"",@progbits
; Kernel info:
; codeLenInByte = 9740
; NumSgprs: 26
; NumVgprs: 156
; NumAgprs: 0
; TotalNumVgprs: 156
; ScratchSize: 0
; MemoryBound: 0
; FloatMode: 240
; IeeeMode: 1
; LDSByteSize: 10368 bytes/workgroup (compile time only)
; SGPRBlocks: 3
; VGPRBlocks: 19
; NumSGPRsForWavesPerEU: 26
; NumVGPRsForWavesPerEU: 156
; AccumOffset: 156
; Occupancy: 3
; WaveLimiterHint : 1
; COMPUTE_PGM_RSRC2:SCRATCH_EN: 0
; COMPUTE_PGM_RSRC2:USER_SGPR: 2
; COMPUTE_PGM_RSRC2:TRAP_HANDLER: 0
; COMPUTE_PGM_RSRC2:TGID_X_EN: 1
; COMPUTE_PGM_RSRC2:TGID_Y_EN: 0
; COMPUTE_PGM_RSRC2:TGID_Z_EN: 0
; COMPUTE_PGM_RSRC2:TIDIG_COMP_CNT: 0
; COMPUTE_PGM_RSRC3_GFX90A:ACCUM_OFFSET: 38
; COMPUTE_PGM_RSRC3_GFX90A:TG_SPLIT: 0
	.text
	.p2alignl 6, 3212836864
	.fill 256, 4, 3212836864
	.type	__hip_cuid_723a5b0802486d2f,@object ; @__hip_cuid_723a5b0802486d2f
	.section	.bss,"aw",@nobits
	.globl	__hip_cuid_723a5b0802486d2f
__hip_cuid_723a5b0802486d2f:
	.byte	0                               ; 0x0
	.size	__hip_cuid_723a5b0802486d2f, 1

	.ident	"AMD clang version 19.0.0git (https://github.com/RadeonOpenCompute/llvm-project roc-6.4.0 25133 c7fe45cf4b819c5991fe208aaa96edf142730f1d)"
	.section	".note.GNU-stack","",@progbits
	.addrsig
	.addrsig_sym __hip_cuid_723a5b0802486d2f
	.amdgpu_metadata
---
amdhsa.kernels:
  - .agpr_count:     0
    .args:
      - .actual_access:  read_only
        .address_space:  global
        .offset:         0
        .size:           8
        .value_kind:     global_buffer
      - .actual_access:  read_only
        .address_space:  global
        .offset:         8
        .size:           8
        .value_kind:     global_buffer
      - .actual_access:  read_only
        .address_space:  global
        .offset:         16
        .size:           8
        .value_kind:     global_buffer
      - .actual_access:  read_only
        .address_space:  global
        .offset:         24
        .size:           8
        .value_kind:     global_buffer
      - .actual_access:  read_only
        .address_space:  global
        .offset:         32
        .size:           8
        .value_kind:     global_buffer
      - .offset:         40
        .size:           8
        .value_kind:     by_value
      - .address_space:  global
        .offset:         48
        .size:           8
        .value_kind:     global_buffer
      - .address_space:  global
        .offset:         56
        .size:           8
        .value_kind:     global_buffer
      - .address_space:  global
        .offset:         64
        .size:           8
        .value_kind:     global_buffer
      - .address_space:  global
        .offset:         72
        .size:           8
        .value_kind:     global_buffer
      - .offset:         80
        .size:           4
        .value_kind:     by_value
      - .address_space:  global
        .offset:         88
        .size:           8
        .value_kind:     global_buffer
      - .address_space:  global
        .offset:         96
        .size:           8
        .value_kind:     global_buffer
    .group_segment_fixed_size: 10368
    .kernarg_segment_align: 8
    .kernarg_segment_size: 104
    .language:       OpenCL C
    .language_version:
      - 2
      - 0
    .max_flat_workgroup_size: 108
    .name:           bluestein_single_back_len1296_dim1_sp_op_CI_CI
    .private_segment_fixed_size: 0
    .sgpr_count:     26
    .sgpr_spill_count: 0
    .symbol:         bluestein_single_back_len1296_dim1_sp_op_CI_CI.kd
    .uniform_work_group_size: 1
    .uses_dynamic_stack: false
    .vgpr_count:     156
    .vgpr_spill_count: 0
    .wavefront_size: 64
amdhsa.target:   amdgcn-amd-amdhsa--gfx950
amdhsa.version:
  - 1
  - 2
...

	.end_amdgpu_metadata
